;; amdgpu-corpus repo=ROCm/rocFFT kind=compiled arch=gfx950 opt=O3
	.text
	.amdgcn_target "amdgcn-amd-amdhsa--gfx950"
	.amdhsa_code_object_version 6
	.protected	fft_rtc_fwd_len910_factors_13_2_7_5_wgs_182_tpt_91_sp_ip_CI_unitstride_sbrr_C2R_dirReg ; -- Begin function fft_rtc_fwd_len910_factors_13_2_7_5_wgs_182_tpt_91_sp_ip_CI_unitstride_sbrr_C2R_dirReg
	.globl	fft_rtc_fwd_len910_factors_13_2_7_5_wgs_182_tpt_91_sp_ip_CI_unitstride_sbrr_C2R_dirReg
	.p2align	8
	.type	fft_rtc_fwd_len910_factors_13_2_7_5_wgs_182_tpt_91_sp_ip_CI_unitstride_sbrr_C2R_dirReg,@function
fft_rtc_fwd_len910_factors_13_2_7_5_wgs_182_tpt_91_sp_ip_CI_unitstride_sbrr_C2R_dirReg: ; @fft_rtc_fwd_len910_factors_13_2_7_5_wgs_182_tpt_91_sp_ip_CI_unitstride_sbrr_C2R_dirReg
; %bb.0:
	s_load_dwordx2 s[8:9], s[0:1], 0x50
	s_load_dwordx4 s[4:7], s[0:1], 0x0
	s_load_dwordx2 s[10:11], s[0:1], 0x18
	v_mul_u32_u24_e32 v1, 0x2d1, v0
	v_lshrrev_b32_e32 v1, 16, v1
	v_lshl_add_u32 v6, s2, 1, v1
	v_mov_b32_e32 v4, 0
	s_waitcnt lgkmcnt(0)
	v_cmp_lt_u64_e64 s[2:3], s[6:7], 2
	v_mov_b32_e32 v7, v4
	s_and_b64 vcc, exec, s[2:3]
	v_mov_b64_e32 v[2:3], 0
	s_cbranch_vccnz .LBB0_8
; %bb.1:
	s_load_dwordx2 s[2:3], s[0:1], 0x10
	s_add_u32 s12, s10, 8
	s_addc_u32 s13, s11, 0
	s_mov_b64 s[14:15], 1
	v_mov_b64_e32 v[2:3], 0
	s_waitcnt lgkmcnt(0)
	s_add_u32 s16, s2, 8
	s_addc_u32 s17, s3, 0
.LBB0_2:                                ; =>This Inner Loop Header: Depth=1
	s_load_dwordx2 s[18:19], s[16:17], 0x0
                                        ; implicit-def: $vgpr8_vgpr9
	s_waitcnt lgkmcnt(0)
	v_or_b32_e32 v5, s19, v7
	v_cmp_ne_u64_e32 vcc, 0, v[4:5]
	s_and_saveexec_b64 s[2:3], vcc
	s_xor_b64 s[20:21], exec, s[2:3]
	s_cbranch_execz .LBB0_4
; %bb.3:                                ;   in Loop: Header=BB0_2 Depth=1
	v_cvt_f32_u32_e32 v5, s18
	v_cvt_f32_u32_e32 v8, s19
	s_sub_u32 s2, 0, s18
	s_subb_u32 s3, 0, s19
	v_fmac_f32_e32 v5, 0x4f800000, v8
	v_rcp_f32_e32 v5, v5
	s_nop 0
	v_mul_f32_e32 v5, 0x5f7ffffc, v5
	v_mul_f32_e32 v8, 0x2f800000, v5
	v_trunc_f32_e32 v8, v8
	v_fmac_f32_e32 v5, 0xcf800000, v8
	v_cvt_u32_f32_e32 v12, v8
	v_cvt_u32_f32_e32 v5, v5
	v_mul_lo_u32 v8, s2, v12
	v_mul_hi_u32 v10, s2, v5
	v_mul_lo_u32 v9, s3, v5
	v_add_u32_e32 v10, v10, v8
	v_mul_lo_u32 v13, s2, v5
	v_add_u32_e32 v14, v10, v9
	v_mul_hi_u32 v8, v5, v13
	v_mul_hi_u32 v11, v5, v14
	v_mul_lo_u32 v10, v5, v14
	v_mov_b32_e32 v9, v4
	v_lshl_add_u64 v[8:9], v[8:9], 0, v[10:11]
	v_mul_hi_u32 v11, v12, v13
	v_mul_lo_u32 v13, v12, v13
	v_add_co_u32_e32 v8, vcc, v8, v13
	v_mul_hi_u32 v10, v12, v14
	s_nop 0
	v_addc_co_u32_e32 v8, vcc, v9, v11, vcc
	v_mov_b32_e32 v9, v4
	s_nop 0
	v_addc_co_u32_e32 v11, vcc, 0, v10, vcc
	v_mul_lo_u32 v10, v12, v14
	v_lshl_add_u64 v[8:9], v[8:9], 0, v[10:11]
	v_add_co_u32_e32 v5, vcc, v5, v8
	v_mul_lo_u32 v10, s2, v5
	s_nop 0
	v_addc_co_u32_e32 v12, vcc, v12, v9, vcc
	v_mul_lo_u32 v8, s2, v12
	v_mul_hi_u32 v9, s2, v5
	v_add_u32_e32 v8, v9, v8
	v_mul_lo_u32 v9, s3, v5
	v_add_u32_e32 v13, v8, v9
	v_mul_hi_u32 v15, v12, v10
	v_mul_lo_u32 v16, v12, v10
	v_mul_hi_u32 v9, v5, v13
	v_mul_lo_u32 v8, v5, v13
	v_mul_hi_u32 v10, v5, v10
	v_mov_b32_e32 v11, v4
	v_lshl_add_u64 v[8:9], v[10:11], 0, v[8:9]
	v_add_co_u32_e32 v8, vcc, v8, v16
	v_mul_hi_u32 v14, v12, v13
	s_nop 0
	v_addc_co_u32_e32 v8, vcc, v9, v15, vcc
	v_mul_lo_u32 v10, v12, v13
	s_nop 0
	v_addc_co_u32_e32 v11, vcc, 0, v14, vcc
	v_mov_b32_e32 v9, v4
	v_lshl_add_u64 v[8:9], v[8:9], 0, v[10:11]
	v_add_co_u32_e32 v5, vcc, v5, v8
	v_mul_hi_u32 v10, v6, v5
	s_nop 0
	v_addc_co_u32_e32 v12, vcc, v12, v9, vcc
	v_mad_u64_u32 v[8:9], s[2:3], v6, v12, 0
	v_mov_b32_e32 v11, v4
	v_lshl_add_u64 v[8:9], v[10:11], 0, v[8:9]
	v_mad_u64_u32 v[10:11], s[2:3], v7, v12, 0
	v_mad_u64_u32 v[12:13], s[2:3], v7, v5, 0
	v_add_co_u32_e32 v5, vcc, v8, v12
	s_nop 1
	v_addc_co_u32_e32 v8, vcc, v9, v13, vcc
	v_mov_b32_e32 v9, v4
	s_nop 0
	v_addc_co_u32_e32 v11, vcc, 0, v11, vcc
	v_lshl_add_u64 v[8:9], v[8:9], 0, v[10:11]
	v_mul_lo_u32 v5, s19, v8
	v_mul_lo_u32 v12, s18, v9
	v_mad_u64_u32 v[10:11], s[2:3], s18, v8, 0
	v_add3_u32 v5, v11, v12, v5
	v_sub_u32_e32 v11, v7, v5
	v_mov_b32_e32 v12, s19
	v_sub_co_u32_e32 v14, vcc, v6, v10
	s_nop 1
	v_subb_co_u32_e64 v10, s[2:3], v11, v12, vcc
	v_subrev_co_u32_e64 v11, s[2:3], s18, v14
	v_subb_co_u32_e32 v5, vcc, v7, v5, vcc
	s_nop 0
	v_subbrev_co_u32_e64 v10, s[2:3], 0, v10, s[2:3]
	v_cmp_le_u32_e64 s[2:3], s19, v10
	v_cmp_le_u32_e32 vcc, s19, v5
	s_nop 0
	v_cndmask_b32_e64 v12, 0, -1, s[2:3]
	v_cmp_le_u32_e64 s[2:3], s18, v11
	s_nop 1
	v_cndmask_b32_e64 v11, 0, -1, s[2:3]
	v_cmp_eq_u32_e64 s[2:3], s19, v10
	s_nop 1
	v_cndmask_b32_e64 v15, v12, v11, s[2:3]
	v_lshl_add_u64 v[10:11], v[8:9], 0, 2
	v_lshl_add_u64 v[12:13], v[8:9], 0, 1
	v_cmp_ne_u32_e64 s[2:3], 0, v15
	s_nop 1
	v_cndmask_b32_e64 v11, v13, v11, s[2:3]
	v_cndmask_b32_e64 v13, 0, -1, vcc
	v_cmp_le_u32_e32 vcc, s18, v14
	s_nop 1
	v_cndmask_b32_e64 v14, 0, -1, vcc
	v_cmp_eq_u32_e32 vcc, s19, v5
	s_nop 1
	v_cndmask_b32_e32 v5, v13, v14, vcc
	v_cmp_ne_u32_e32 vcc, 0, v5
	v_cndmask_b32_e64 v5, v12, v10, s[2:3]
	s_nop 0
	v_cndmask_b32_e32 v9, v9, v11, vcc
	v_cndmask_b32_e32 v8, v8, v5, vcc
.LBB0_4:                                ;   in Loop: Header=BB0_2 Depth=1
	s_andn2_saveexec_b64 s[2:3], s[20:21]
	s_cbranch_execz .LBB0_6
; %bb.5:                                ;   in Loop: Header=BB0_2 Depth=1
	v_cvt_f32_u32_e32 v5, s18
	s_sub_i32 s20, 0, s18
	v_rcp_iflag_f32_e32 v5, v5
	s_nop 0
	v_mul_f32_e32 v5, 0x4f7ffffe, v5
	v_cvt_u32_f32_e32 v5, v5
	v_mul_lo_u32 v8, s20, v5
	v_mul_hi_u32 v8, v5, v8
	v_add_u32_e32 v5, v5, v8
	v_mul_hi_u32 v5, v6, v5
	v_mul_lo_u32 v8, v5, s18
	v_sub_u32_e32 v8, v6, v8
	v_add_u32_e32 v9, 1, v5
	v_subrev_u32_e32 v10, s18, v8
	v_cmp_le_u32_e32 vcc, s18, v8
	s_nop 1
	v_cndmask_b32_e32 v8, v8, v10, vcc
	v_cndmask_b32_e32 v5, v5, v9, vcc
	v_add_u32_e32 v9, 1, v5
	v_cmp_le_u32_e32 vcc, s18, v8
	s_nop 1
	v_cndmask_b32_e32 v8, v5, v9, vcc
	v_mov_b32_e32 v9, v4
.LBB0_6:                                ;   in Loop: Header=BB0_2 Depth=1
	s_or_b64 exec, exec, s[2:3]
	v_mad_u64_u32 v[10:11], s[2:3], v8, s18, 0
	s_load_dwordx2 s[2:3], s[12:13], 0x0
	v_mul_lo_u32 v5, v9, s18
	v_mul_lo_u32 v12, v8, s19
	v_add3_u32 v5, v11, v12, v5
	v_sub_co_u32_e32 v6, vcc, v6, v10
	s_add_u32 s14, s14, 1
	s_nop 0
	v_subb_co_u32_e32 v5, vcc, v7, v5, vcc
	s_addc_u32 s15, s15, 0
	s_waitcnt lgkmcnt(0)
	v_mul_lo_u32 v5, s2, v5
	v_mul_lo_u32 v7, s3, v6
	v_mad_u64_u32 v[2:3], s[2:3], s2, v6, v[2:3]
	s_add_u32 s12, s12, 8
	v_add3_u32 v3, v7, v3, v5
	s_addc_u32 s13, s13, 0
	v_mov_b64_e32 v[6:7], s[6:7]
	s_add_u32 s16, s16, 8
	v_cmp_ge_u64_e32 vcc, s[14:15], v[6:7]
	s_addc_u32 s17, s17, 0
	s_cbranch_vccnz .LBB0_9
; %bb.7:                                ;   in Loop: Header=BB0_2 Depth=1
	v_mov_b64_e32 v[6:7], v[8:9]
	s_branch .LBB0_2
.LBB0_8:
	v_mov_b64_e32 v[8:9], v[6:7]
.LBB0_9:
	s_lshl_b64 s[2:3], s[6:7], 3
	s_add_u32 s2, s10, s2
	s_addc_u32 s3, s11, s3
	s_load_dwordx2 s[6:7], s[2:3], 0x0
	s_load_dwordx2 s[10:11], s[0:1], 0x20
	v_and_b32_e32 v1, 1, v1
	s_mov_b32 s2, 0x2d02d03
	v_cmp_eq_u32_e32 vcc, 1, v1
	s_waitcnt lgkmcnt(0)
	v_mul_lo_u32 v4, s6, v9
	v_mul_lo_u32 v5, s7, v8
	v_mad_u64_u32 v[2:3], s[0:1], s6, v8, v[2:3]
	v_add3_u32 v3, v5, v3, v4
	v_mov_b32_e32 v4, 0x38f
	v_mul_hi_u32 v1, v0, s2
	v_cndmask_b32_e32 v4, 0, v4, vcc
	v_mul_u32_u24_e32 v1, 0x5b, v1
	v_cmp_gt_u64_e64 s[0:1], s[10:11], v[8:9]
	v_sub_u32_e32 v32, v0, v1
	v_lshl_add_u64 v[30:31], v[2:3], 3, s[8:9]
	v_lshlrev_b32_e32 v138, 3, v4
	s_and_saveexec_b64 s[2:3], s[0:1]
	s_cbranch_execz .LBB0_13
; %bb.10:
	v_mov_b32_e32 v33, 0
	v_lshl_add_u64 v[0:1], v[32:33], 3, v[30:31]
	s_movk_i32 s6, 0x1000
	v_add_co_u32_e32 v12, vcc, s6, v0
	global_load_dwordx2 v[2:3], v[0:1], off
	global_load_dwordx2 v[6:7], v[0:1], off offset:728
	global_load_dwordx2 v[8:9], v[0:1], off offset:1456
	global_load_dwordx2 v[10:11], v[0:1], off offset:2184
	v_addc_co_u32_e32 v13, vcc, 0, v1, vcc
	global_load_dwordx2 v[14:15], v[0:1], off offset:2912
	global_load_dwordx2 v[16:17], v[0:1], off offset:3640
	;; [unrolled: 1-line block ×6, first 2 shown]
	v_lshlrev_b32_e32 v0, 3, v32
	s_movk_i32 s6, 0x5a
	v_add3_u32 v0, 0, v138, v0
	v_cmp_eq_u32_e32 vcc, s6, v32
	v_add_u32_e32 v1, 0x400, v0
	v_add_u32_e32 v5, 0x800, v0
	;; [unrolled: 1-line block ×4, first 2 shown]
	s_waitcnt vmcnt(8)
	ds_write2_b64 v0, v[2:3], v[6:7] offset1:91
	s_waitcnt vmcnt(6)
	ds_write2_b64 v1, v[8:9], v[10:11] offset0:54 offset1:145
	s_waitcnt vmcnt(4)
	ds_write2_b64 v5, v[14:15], v[16:17] offset0:108 offset1:199
	;; [unrolled: 2-line block ×4, first 2 shown]
	s_and_saveexec_b64 s[6:7], vcc
	s_cbranch_execz .LBB0_12
; %bb.11:
	v_add_co_u32_e32 v2, vcc, 0x1000, v30
	v_mov_b32_e32 v32, 0x5a
	s_nop 0
	v_addc_co_u32_e32 v3, vcc, 0, v31, vcc
	global_load_dwordx2 v[2:3], v[2:3], off offset:3184
	s_waitcnt vmcnt(0)
	ds_write_b64 v0, v[2:3] offset:6560
.LBB0_12:
	s_or_b64 exec, exec, s[6:7]
.LBB0_13:
	s_or_b64 exec, exec, s[2:3]
	v_lshl_add_u32 v136, v4, 3, 0
	v_lshlrev_b32_e32 v0, 3, v32
	v_add_u32_e32 v137, v136, v0
	s_waitcnt lgkmcnt(0)
	s_barrier
	v_sub_u32_e32 v5, v136, v0
	ds_read_b32 v0, v137
	ds_read_b32 v1, v5 offset:7280
	s_add_u32 s2, s4, 0x1c08
	s_addc_u32 s3, s5, 0
	v_cmp_ne_u32_e32 vcc, 0, v32
	s_waitcnt lgkmcnt(0)
	v_add_f32_e32 v2, v1, v0
	v_sub_f32_e32 v3, v0, v1
                                        ; implicit-def: $vgpr0_vgpr1
	s_and_saveexec_b64 s[6:7], vcc
	s_xor_b64 s[6:7], exec, s[6:7]
	s_cbranch_execz .LBB0_15
; %bb.14:
	v_mov_b32_e32 v33, 0
	v_lshl_add_u64 v[0:1], v[32:33], 3, s[2:3]
	global_load_dwordx2 v[6:7], v[0:1], off
	ds_read_b32 v11, v5 offset:7284
	ds_read_b32 v12, v137 offset:4
	v_mov_b32_e32 v8, v3
	v_mov_b32_e32 v10, v2
	;; [unrolled: 1-line block ×3, first 2 shown]
	v_mov_b64_e32 v[0:1], v[32:33]
	s_waitcnt lgkmcnt(0)
	v_add_f32_e32 v9, v11, v12
	v_sub_f32_e32 v11, v12, v11
	v_mov_b32_e32 v12, v9
	s_waitcnt vmcnt(0)
	v_pk_mul_f32 v[14:15], v[8:9], v[6:7] op_sel:[0,1]
	v_pk_fma_f32 v[8:9], v[8:9], v[6:7], v[10:11] op_sel:[0,1,0]
	v_mov_b32_e32 v3, v15
	v_mov_b32_e32 v15, v11
	v_pk_fma_f32 v[16:17], v[6:7], v[12:13], v[8:9] neg_lo:[1,0,0] neg_hi:[1,0,0]
	v_pk_fma_f32 v[8:9], v[6:7], v[12:13], v[8:9] op_sel_hi:[0,1,1]
	v_pk_add_f32 v[2:3], v[2:3], v[14:15] neg_lo:[0,1] neg_hi:[0,1]
	v_mov_b32_e32 v17, v9
	v_pk_fma_f32 v[2:3], v[6:7], v[12:13], v[2:3] op_sel_hi:[0,1,1]
	ds_write_b64 v5, v[2:3] offset:7280
	v_mov_b64_e32 v[2:3], v[16:17]
.LBB0_15:
	s_andn2_saveexec_b64 s[6:7], s[6:7]
	s_cbranch_execz .LBB0_17
; %bb.16:
	ds_read_b64 v[0:1], v136 offset:3640
	s_mov_b32 s8, 2.0
	s_mov_b32 s9, -2.0
	s_waitcnt lgkmcnt(0)
	v_pk_mul_f32 v[0:1], v[0:1], s[8:9]
	ds_write_b64 v136, v[0:1] offset:3640
	v_mov_b64_e32 v[0:1], 0
.LBB0_17:
	s_or_b64 exec, exec, s[6:7]
	v_lshl_add_u64 v[6:7], v[0:1], 3, s[2:3]
	global_load_dwordx2 v[8:9], v[6:7], off offset:728
	v_add_u32_e32 v0, 0xb6, v32
	v_mov_b32_e32 v1, 0
	v_lshl_add_u64 v[10:11], v[0:1], 3, s[2:3]
	global_load_dwordx2 v[10:11], v[10:11], off
	v_add_u32_e32 v36, 0x111, v32
	v_mov_b32_e32 v37, v1
	v_lshl_add_u64 v[12:13], v[36:37], 3, s[2:3]
	global_load_dwordx2 v[14:15], v[12:13], off
	global_load_dwordx2 v[16:17], v[6:7], off offset:2912
	ds_write_b64 v137, v[2:3]
	ds_read_b64 v[2:3], v137 offset:728
	ds_read_b64 v[6:7], v5 offset:6552
	v_lshl_add_u32 v22, v0, 3, v136
	v_lshl_add_u32 v140, v32, 3, 0
	;; [unrolled: 1-line block ×3, first 2 shown]
	v_add_u32_e32 v4, 0x1800, v33
	s_waitcnt lgkmcnt(0)
	v_pk_add_f32 v[12:13], v[2:3], v[6:7]
	v_pk_add_f32 v[2:3], v[2:3], v[6:7] neg_lo:[0,1] neg_hi:[0,1]
	v_mov_b32_e32 v6, v13
	v_mov_b32_e32 v7, v2
	;; [unrolled: 1-line block ×3, first 2 shown]
	v_add_u32_e32 v37, 0x400, v33
	v_add_u32_e32 v139, 0x1000, v33
	s_mov_b32 s12, 0xbf52af12
	s_mov_b32 s2, 0x3f116cb1
	;; [unrolled: 1-line block ×15, first 2 shown]
	s_waitcnt vmcnt(3)
	v_pk_mul_f32 v[18:19], v[6:7], v[8:9] op_sel:[0,1]
	s_nop 0
	v_pk_add_f32 v[20:21], v[12:13], v[18:19] op_sel:[0,1] op_sel_hi:[1,0]
	v_mov_b32_e32 v13, v18
	v_mov_b32_e32 v2, v19
	v_pk_fma_f32 v[18:19], v[8:9], v[6:7], v[20:21] neg_lo:[1,0,0] neg_hi:[1,0,0]
	v_pk_fma_f32 v[20:21], v[8:9], v[6:7], v[20:21] op_sel_hi:[0,1,1]
	v_pk_add_f32 v[2:3], v[12:13], v[2:3] neg_lo:[0,1] neg_hi:[0,1]
	v_mov_b32_e32 v19, v21
	v_pk_fma_f32 v[2:3], v[8:9], v[6:7], v[2:3] op_sel_hi:[0,1,1]
	ds_write_b64 v137, v[18:19] offset:728
	ds_write_b64 v5, v[2:3] offset:6552
	ds_read_b64 v[2:3], v5 offset:5824
	ds_read_b64 v[6:7], v22
	v_lshl_add_u32 v20, v36, 3, v136
	s_waitcnt lgkmcnt(0)
	v_pk_add_f32 v[8:9], v[6:7], v[2:3]
	v_pk_add_f32 v[2:3], v[6:7], v[2:3] neg_lo:[0,1] neg_hi:[0,1]
	v_mov_b32_e32 v6, v9
	v_mov_b32_e32 v7, v2
	v_mov_b32_e32 v9, v3
	s_waitcnt vmcnt(2)
	v_pk_mul_f32 v[12:13], v[6:7], v[10:11] op_sel:[0,1]
	s_nop 0
	v_pk_add_f32 v[18:19], v[8:9], v[12:13] op_sel:[0,1] op_sel_hi:[1,0]
	v_mov_b32_e32 v9, v12
	v_mov_b32_e32 v2, v13
	v_pk_fma_f32 v[12:13], v[10:11], v[6:7], v[18:19] neg_lo:[1,0,0] neg_hi:[1,0,0]
	v_pk_fma_f32 v[18:19], v[10:11], v[6:7], v[18:19] op_sel_hi:[0,1,1]
	v_pk_add_f32 v[2:3], v[8:9], v[2:3] neg_lo:[0,1] neg_hi:[0,1]
	v_mov_b32_e32 v13, v19
	v_pk_fma_f32 v[2:3], v[10:11], v[6:7], v[2:3] op_sel_hi:[0,1,1]
	ds_write_b64 v22, v[12:13]
	ds_write_b64 v5, v[2:3] offset:5824
	ds_read_b64 v[2:3], v5 offset:5096
	ds_read_b64 v[6:7], v20
	s_waitcnt lgkmcnt(0)
	v_pk_add_f32 v[8:9], v[6:7], v[2:3]
	v_pk_add_f32 v[2:3], v[6:7], v[2:3] neg_lo:[0,1] neg_hi:[0,1]
	v_mov_b32_e32 v6, v9
	v_mov_b32_e32 v7, v2
	;; [unrolled: 1-line block ×3, first 2 shown]
	s_waitcnt vmcnt(1)
	v_pk_mul_f32 v[10:11], v[6:7], v[14:15] op_sel:[0,1]
	s_nop 0
	v_pk_add_f32 v[12:13], v[8:9], v[10:11] op_sel:[0,1] op_sel_hi:[1,0]
	v_mov_b32_e32 v9, v10
	v_mov_b32_e32 v2, v11
	v_pk_fma_f32 v[10:11], v[14:15], v[6:7], v[12:13] neg_lo:[1,0,0] neg_hi:[1,0,0]
	v_pk_fma_f32 v[12:13], v[14:15], v[6:7], v[12:13] op_sel_hi:[0,1,1]
	v_pk_add_f32 v[2:3], v[8:9], v[2:3] neg_lo:[0,1] neg_hi:[0,1]
	v_mov_b32_e32 v11, v13
	v_pk_fma_f32 v[2:3], v[14:15], v[6:7], v[2:3] op_sel_hi:[0,1,1]
	ds_write_b64 v20, v[10:11]
	ds_write_b64 v5, v[2:3] offset:5096
	ds_read_b64 v[2:3], v5 offset:4368
	ds_read_b64 v[6:7], v137 offset:2912
	s_waitcnt lgkmcnt(0)
	v_pk_add_f32 v[8:9], v[6:7], v[2:3]
	v_pk_add_f32 v[2:3], v[6:7], v[2:3] neg_lo:[0,1] neg_hi:[0,1]
	v_mov_b32_e32 v6, v9
	v_mov_b32_e32 v7, v2
	;; [unrolled: 1-line block ×3, first 2 shown]
	s_waitcnt vmcnt(0)
	v_pk_mul_f32 v[10:11], v[6:7], v[16:17] op_sel:[0,1]
	s_nop 0
	v_pk_add_f32 v[12:13], v[8:9], v[10:11] op_sel:[0,1] op_sel_hi:[1,0]
	v_mov_b32_e32 v9, v10
	v_mov_b32_e32 v2, v11
	v_pk_fma_f32 v[10:11], v[16:17], v[6:7], v[12:13] neg_lo:[1,0,0] neg_hi:[1,0,0]
	v_pk_fma_f32 v[12:13], v[16:17], v[6:7], v[12:13] op_sel_hi:[0,1,1]
	v_pk_add_f32 v[2:3], v[8:9], v[2:3] neg_lo:[0,1] neg_hi:[0,1]
	v_mov_b32_e32 v11, v13
	v_pk_fma_f32 v[2:3], v[16:17], v[6:7], v[2:3] op_sel_hi:[0,1,1]
	ds_write_b64 v137, v[10:11] offset:2912
	ds_write_b64 v5, v[2:3] offset:4368
	s_waitcnt lgkmcnt(0)
	s_barrier
	s_barrier
	ds_read2_b64 v[14:17], v33 offset0:70 offset1:140
	ds_read2_b64 v[6:9], v4 offset0:2 offset1:72
	ds_read_b64 v[38:39], v137
	ds_read2_b64 v[18:21], v37 offset0:82 offset1:152
	ds_read2_b64 v[10:13], v139 offset0:118 offset1:188
	s_waitcnt lgkmcnt(3)
	v_pk_add_f32 v[48:49], v[14:15], v[8:9] neg_lo:[0,1] neg_hi:[0,1]
	v_pk_add_f32 v[46:47], v[8:9], v[14:15]
	v_pk_add_f32 v[50:51], v[16:17], v[6:7] neg_lo:[0,1] neg_hi:[0,1]
	v_pk_mul_f32 v[2:3], v[48:49], s[12:13] op_sel_hi:[1,0]
	v_pk_add_f32 v[42:43], v[6:7], v[16:17]
	s_waitcnt lgkmcnt(0)
	v_pk_add_f32 v[52:53], v[18:19], v[12:13] neg_lo:[0,1] neg_hi:[0,1]
	v_pk_mul_f32 v[4:5], v[50:51], s[8:9] op_sel_hi:[1,0]
	v_pk_fma_f32 v[68:69], v[46:47], s[2:3], v[2:3] op_sel:[0,0,1] op_sel_hi:[1,0,0]
	v_pk_fma_f32 v[70:71], v[46:47], s[2:3], v[2:3] op_sel:[0,0,1] op_sel_hi:[1,0,0] neg_lo:[0,0,1] neg_hi:[0,0,1]
	v_pk_add_f32 v[40:41], v[12:13], v[18:19]
	v_pk_mul_f32 v[22:23], v[52:53], s[14:15] op_sel_hi:[1,0]
	v_pk_fma_f32 v[64:65], v[42:43], s[6:7], v[4:5] op_sel:[0,0,1] op_sel_hi:[1,0,0]
	v_pk_fma_f32 v[66:67], v[42:43], s[6:7], v[4:5] op_sel:[0,0,1] op_sel_hi:[1,0,0] neg_lo:[0,0,1] neg_hi:[0,0,1]
	v_mov_b32_e32 v2, v68
	v_mov_b32_e32 v3, v71
	v_pk_fma_f32 v[60:61], v[40:41], s[10:11], v[22:23] op_sel:[0,0,1] op_sel_hi:[1,0,0]
	v_pk_fma_f32 v[62:63], v[40:41], s[10:11], v[22:23] op_sel:[0,0,1] op_sel_hi:[1,0,0] neg_lo:[0,0,1] neg_hi:[0,0,1]
	v_mov_b32_e32 v4, v64
	v_mov_b32_e32 v5, v67
	v_pk_add_f32 v[2:3], v[38:39], v[2:3]
	v_mov_b32_e32 v22, v60
	v_mov_b32_e32 v23, v63
	v_pk_add_f32 v[2:3], v[4:5], v[2:3]
	v_add_u32_e32 v64, 0x800, v33
	v_pk_add_f32 v[2:3], v[22:23], v[2:3]
	v_add_u32_e32 v60, 0xc00, v33
	ds_read2_b64 v[26:29], v64 offset0:94 offset1:164
	ds_read2_b64 v[22:25], v60 offset0:106 offset1:176
	v_pk_add_f32 v[54:55], v[20:21], v[10:11] neg_lo:[0,1] neg_hi:[0,1]
	v_pk_add_f32 v[44:45], v[10:11], v[20:21]
	v_pk_mul_f32 v[4:5], v[54:55], s[26:27] op_sel_hi:[1,0]
	v_pk_mul_f32 v[34:35], v[48:49], s[30:31] op_sel_hi:[1,0]
	v_pk_fma_f32 v[74:75], v[44:45], s[16:17], v[4:5] op_sel:[0,0,1] op_sel_hi:[1,0,0]
	v_pk_fma_f32 v[76:77], v[44:45], s[16:17], v[4:5] op_sel:[0,0,1] op_sel_hi:[1,0,0] neg_lo:[0,0,1] neg_hi:[0,0,1]
	v_mov_b32_e32 v4, v74
	v_mov_b32_e32 v5, v77
	s_waitcnt lgkmcnt(0)
	v_pk_add_f32 v[58:59], v[26:27], v[24:25] neg_lo:[0,1] neg_hi:[0,1]
	v_pk_add_f32 v[2:3], v[4:5], v[2:3]
	v_pk_add_f32 v[56:57], v[24:25], v[26:27]
	v_pk_mul_f32 v[4:5], v[58:59], s[20:21] op_sel_hi:[1,0]
	v_pk_fma_f32 v[98:99], v[46:47], s[18:19], v[34:35] op_sel:[0,0,1] op_sel_hi:[1,0,0]
	v_pk_fma_f32 v[78:79], v[56:57], s[18:19], v[4:5] op_sel:[0,0,1] op_sel_hi:[1,0,0]
	v_pk_fma_f32 v[82:83], v[56:57], s[18:19], v[4:5] op_sel:[0,0,1] op_sel_hi:[1,0,0] neg_lo:[0,0,1] neg_hi:[0,0,1]
	v_mov_b32_e32 v4, v78
	v_mov_b32_e32 v5, v83
	v_pk_add_f32 v[2:3], v[4:5], v[2:3]
	v_pk_mul_f32 v[4:5], v[48:49], s[24:25] op_sel_hi:[1,0]
	v_pk_mul_f32 v[80:81], v[50:51], s[12:13] op_sel_hi:[1,0]
	v_pk_fma_f32 v[84:85], v[46:47], s[22:23], v[4:5] op_sel:[0,0,1] op_sel_hi:[1,0,0] neg_lo:[0,0,1] neg_hi:[0,0,1]
	v_pk_mul_f32 v[86:87], v[50:51], s[14:15] op_sel_hi:[1,0]
	s_mov_b32 s24, 0x3f6f5d39
	v_mov_b32_e32 v72, v98
	v_mov_b32_e32 v73, v85
	v_pk_fma_f32 v[90:91], v[42:43], s[2:3], v[80:81] op_sel:[0,0,1] op_sel_hi:[1,0,0] neg_lo:[0,0,1] neg_hi:[0,0,1]
	v_pk_fma_f32 v[104:105], v[42:43], s[10:11], v[86:87] op_sel:[0,0,1] op_sel_hi:[1,0,0]
	v_pk_mul_f32 v[92:93], v[52:53], s[30:31] op_sel_hi:[1,0]
	v_pk_mul_f32 v[96:97], v[52:53], s[24:25] op_sel_hi:[1,0]
	v_pk_add_f32 v[72:73], v[38:39], v[72:73]
	v_mov_b32_e32 v88, v104
	v_mov_b32_e32 v89, v91
	v_pk_fma_f32 v[94:95], v[40:41], s[18:19], v[92:93] op_sel:[0,0,1] op_sel_hi:[1,0,0] neg_lo:[0,0,1] neg_hi:[0,0,1]
	v_pk_fma_f32 v[112:113], v[40:41], s[6:7], v[96:97] op_sel:[0,0,1] op_sel_hi:[1,0,0]
	v_pk_add_f32 v[72:73], v[88:89], v[72:73]
	v_mov_b32_e32 v88, v112
	v_mov_b32_e32 v89, v95
	v_pk_mul_f32 v[100:101], v[44:45], s[6:7] op_sel_hi:[1,0]
	v_pk_mul_f32 v[114:115], v[44:45], s[22:23] op_sel_hi:[1,0]
	v_pk_add_f32 v[72:73], v[88:89], v[72:73]
	v_mov_b32_e32 v88, v101
	v_mov_b32_e32 v89, v114
	v_pk_mul_f32 v[124:125], v[54:55], s[8:9] op_sel_hi:[1,0]
	s_mov_b32 s9, s28
	v_pk_fma_f32 v[102:103], v[54:55], s[8:9], v[88:89] neg_lo:[1,0,0] neg_hi:[1,0,0]
	v_pk_fma_f32 v[88:89], v[54:55], s[8:9], v[88:89]
	v_pk_fma_f32 v[118:119], v[46:47], s[22:23], v[4:5] op_sel:[0,0,1] op_sel_hi:[1,0,0]
	v_mov_b32_e32 v103, v89
	v_pk_fma_f32 v[88:89], v[46:47], s[18:19], v[34:35] op_sel:[0,0,1] op_sel_hi:[1,0,0] neg_lo:[0,0,1] neg_hi:[0,0,1]
	v_pk_fma_f32 v[116:117], v[42:43], s[2:3], v[80:81] op_sel:[0,0,1] op_sel_hi:[1,0,0]
	v_pk_fma_f32 v[86:87], v[42:43], s[10:11], v[86:87] op_sel:[0,0,1] op_sel_hi:[1,0,0] neg_lo:[0,0,1] neg_hi:[0,0,1]
	v_mov_b32_e32 v4, v118
	v_mov_b32_e32 v5, v89
	v_pk_add_f32 v[4:5], v[38:39], v[4:5]
	v_mov_b32_e32 v34, v116
	v_mov_b32_e32 v35, v87
	v_pk_fma_f32 v[120:121], v[40:41], s[18:19], v[92:93] op_sel:[0,0,1] op_sel_hi:[1,0,0]
	v_pk_fma_f32 v[92:93], v[40:41], s[6:7], v[96:97] op_sel:[0,0,1] op_sel_hi:[1,0,0] neg_lo:[0,0,1] neg_hi:[0,0,1]
	v_pk_add_f32 v[4:5], v[34:35], v[4:5]
	v_mov_b32_e32 v34, v120
	v_mov_b32_e32 v35, v93
	s_mov_b32 s7, s22
	v_pk_mul_f32 v[130:131], v[54:55], s[28:29] op_sel_hi:[1,0]
	v_pk_add_f32 v[4:5], v[34:35], v[4:5]
	v_pk_fma_f32 v[34:35], v[44:45], s[6:7], v[124:125] op_sel:[0,0,1] op_sel_hi:[1,1,0]
	v_pk_fma_f32 v[80:81], v[44:45], s[6:7], v[130:131] op_sel:[0,0,1] op_sel_hi:[1,1,0] neg_lo:[0,0,1] neg_hi:[0,0,1]
	v_pk_add_f32 v[72:73], v[102:103], v[72:73] op_sel:[0,1] op_sel_hi:[1,0]
	v_mov_b32_e32 v35, v81
	v_pk_add_f32 v[4:5], v[34:35], v[4:5]
	v_pk_mul_f32 v[34:35], v[58:59], s[34:35] op_sel_hi:[1,0]
	v_pk_mul_f32 v[80:81], v[58:59], s[12:13] op_sel_hi:[1,0]
	v_pk_fma_f32 v[110:111], v[56:57], s[16:17], v[34:35] op_sel:[0,0,1] op_sel_hi:[1,0,0] neg_lo:[0,0,1] neg_hi:[0,0,1]
	v_pk_fma_f32 v[128:129], v[56:57], s[2:3], v[80:81] op_sel:[0,0,1] op_sel_hi:[1,0,0]
	v_mov_b32_e32 v96, v111
	v_mov_b32_e32 v97, v128
	v_pk_add_f32 v[102:103], v[96:97], v[72:73]
	v_pk_fma_f32 v[96:97], v[56:57], s[2:3], v[80:81] op_sel:[0,0,1] op_sel_hi:[1,0,0] neg_lo:[0,0,1] neg_hi:[0,0,1]
	v_pk_add_f32 v[80:81], v[28:29], v[22:23] neg_lo:[0,1] neg_hi:[0,1]
	v_pk_fma_f32 v[126:127], v[56:57], s[16:17], v[34:35] op_sel:[0,0,1] op_sel_hi:[1,0,0]
	v_pk_add_f32 v[72:73], v[22:23], v[28:29]
	v_pk_mul_f32 v[106:107], v[80:81], s[14:15] op_sel_hi:[1,0]
	v_pk_mul_f32 v[142:143], v[80:81], s[34:35] op_sel_hi:[1,0]
	v_mov_b32_e32 v34, v126
	v_mov_b32_e32 v35, v97
	v_pk_fma_f32 v[122:123], v[72:73], s[10:11], v[106:107] op_sel:[0,0,1] op_sel_hi:[1,0,0] neg_lo:[0,0,1] neg_hi:[0,0,1]
	v_pk_fma_f32 v[134:135], v[72:73], s[16:17], v[142:143] op_sel:[0,0,1] op_sel_hi:[1,0,0]
	v_pk_add_f32 v[4:5], v[34:35], v[4:5]
	v_mov_b32_e32 v34, v123
	v_mov_b32_e32 v35, v134
	v_pk_add_f32 v[34:35], v[34:35], v[102:103]
	v_pk_mul_f32 v[102:103], v[80:81], s[28:29] op_sel_hi:[1,0]
	v_pk_fma_f32 v[132:133], v[72:73], s[10:11], v[106:107] op_sel:[0,0,1] op_sel_hi:[1,0,0]
	v_pk_fma_f32 v[106:107], v[72:73], s[22:23], v[102:103] op_sel:[0,0,1] op_sel_hi:[1,0,0]
	v_pk_fma_f32 v[108:109], v[72:73], s[22:23], v[102:103] op_sel:[0,0,1] op_sel_hi:[1,0,0] neg_lo:[0,0,1] neg_hi:[0,0,1]
	v_mov_b32_e32 v102, v106
	v_mov_b32_e32 v103, v109
	v_pk_add_f32 v[2:3], v[102:103], v[2:3]
	v_pk_fma_f32 v[102:103], v[72:73], s[16:17], v[142:143] op_sel:[0,0,1] op_sel_hi:[1,0,0] neg_lo:[0,0,1] neg_hi:[0,0,1]
	v_mov_b32_e32 v142, v132
	v_mov_b32_e32 v143, v103
	s_movk_i32 s3, 0x46
	v_pk_add_f32 v[4:5], v[142:143], v[4:5]
	v_cmp_gt_u32_e32 vcc, s3, v32
	s_barrier
	s_and_saveexec_b64 s[24:25], vcc
	s_cbranch_execz .LBB0_19
; %bb.18:
	v_pk_add_f32 v[14:15], v[38:39], v[14:15]
	v_mov_b32_e32 v142, v125
	v_pk_add_f32 v[14:15], v[14:15], v[16:17]
	v_mov_b32_e32 v143, v124
	v_pk_add_f32 v[14:15], v[14:15], v[18:19]
	v_mov_b32_e32 v124, v131
	v_pk_add_f32 v[14:15], v[14:15], v[20:21]
	v_mov_b32_e32 v125, v130
	v_pk_add_f32 v[14:15], v[14:15], v[26:27]
	v_mov_b32_e32 v85, v119
	v_pk_add_f32 v[14:15], v[14:15], v[28:29]
	v_mov_b32_e32 v89, v99
	v_pk_add_f32 v[14:15], v[14:15], v[22:23]
	v_mov_b32_e32 v87, v105
	v_pk_add_f32 v[14:15], v[14:15], v[24:25]
	v_pk_add_f32 v[98:99], v[114:115], v[124:125] neg_lo:[0,1] neg_hi:[0,1]
	v_pk_add_f32 v[10:11], v[14:15], v[10:11]
	v_pk_add_f32 v[104:105], v[114:115], v[124:125]
	;; [unrolled: 1-line block ×3, first 2 shown]
	v_mov_b32_e32 v91, v117
	v_pk_add_f32 v[6:7], v[10:11], v[6:7]
	v_mov_b32_e32 v99, v105
	v_pk_add_f32 v[6:7], v[6:7], v[8:9]
	v_pk_add_f32 v[8:9], v[38:39], v[84:85]
	v_mov_b32_e32 v95, v121
	v_pk_add_f32 v[104:105], v[100:101], v[142:143] neg_lo:[0,1] neg_hi:[0,1]
	v_pk_add_f32 v[100:101], v[100:101], v[142:143]
	v_pk_add_f32 v[8:9], v[90:91], v[8:9]
	v_mov_b32_e32 v105, v101
	v_pk_add_f32 v[8:9], v[94:95], v[8:9]
	v_mov_b32_e32 v111, v127
	;; [unrolled: 2-line block ×3, first 2 shown]
	v_mul_u32_u24_e32 v63, 0x60, v32
	v_pk_add_f32 v[8:9], v[110:111], v[8:9]
	v_add3_u32 v100, v140, v63, v138
	v_pk_add_f32 v[8:9], v[122:123], v[8:9]
	v_mov_b32_e32 v71, v69
	ds_write2_b64 v100, v[6:7], v[8:9] offset1:1
	v_pk_add_f32 v[6:7], v[38:39], v[70:71]
	v_mov_b32_e32 v67, v65
	v_pk_add_f32 v[8:9], v[38:39], v[88:89]
	v_mov_b32_e32 v93, v113
	;; [unrolled: 2-line block ×3, first 2 shown]
	v_pk_add_f32 v[8:9], v[86:87], v[8:9]
	v_pk_add_f32 v[6:7], v[62:63], v[6:7]
	v_mov_b32_e32 v77, v75
	v_pk_add_f32 v[8:9], v[92:93], v[8:9]
	v_mov_b32_e32 v97, v129
	;; [unrolled: 2-line block ×5, first 2 shown]
	v_pk_add_f32 v[8:9], v[96:97], v[8:9]
	v_pk_add_f32 v[6:7], v[108:109], v[6:7]
	;; [unrolled: 1-line block ×3, first 2 shown]
	ds_write2_b64 v100, v[6:7], v[8:9] offset0:2 offset1:3
	v_pk_mul_f32 v[6:7], v[48:49], s[8:9] op_sel_hi:[1,0]
	v_pk_mul_f32 v[8:9], v[50:51], s[26:27] op_sel_hi:[1,0]
	v_pk_fma_f32 v[18:19], v[46:47], s[6:7], v[6:7] op_sel:[0,0,1] op_sel_hi:[1,0,0] neg_lo:[0,0,1] neg_hi:[0,0,1]
	v_pk_fma_f32 v[6:7], v[46:47], s[6:7], v[6:7] op_sel:[0,0,1] op_sel_hi:[1,0,0]
	v_mov_b32_e32 v20, v18
	v_mov_b32_e32 v21, v7
	v_pk_fma_f32 v[22:23], v[42:43], s[16:17], v[8:9] op_sel:[0,0,1] op_sel_hi:[1,0,0] neg_lo:[0,0,1] neg_hi:[0,0,1]
	v_pk_fma_f32 v[8:9], v[42:43], s[16:17], v[8:9] op_sel:[0,0,1] op_sel_hi:[1,0,0]
	v_pk_mul_f32 v[10:11], v[52:53], s[28:29] op_sel_hi:[1,0]
	v_pk_add_f32 v[20:21], v[38:39], v[20:21]
	v_mov_b32_e32 v24, v22
	v_mov_b32_e32 v25, v9
	v_pk_add_f32 v[20:21], v[24:25], v[20:21]
	v_pk_fma_f32 v[24:25], v[40:41], s[22:23], v[10:11] op_sel:[0,0,1] op_sel_hi:[1,0,0] neg_lo:[0,0,1] neg_hi:[0,0,1]
	v_pk_fma_f32 v[10:11], v[40:41], s[22:23], v[10:11] op_sel:[0,0,1] op_sel_hi:[1,0,0]
	v_pk_mul_f32 v[12:13], v[54:55], s[30:31] op_sel_hi:[1,0]
	v_mov_b32_e32 v26, v24
	v_mov_b32_e32 v27, v11
	s_mov_b32 s26, 0x3e750f2a
	v_pk_add_f32 v[20:21], v[26:27], v[20:21]
	v_pk_fma_f32 v[26:27], v[44:45], s[18:19], v[12:13] op_sel:[0,0,1] op_sel_hi:[1,0,0] neg_lo:[0,0,1] neg_hi:[0,0,1]
	v_pk_fma_f32 v[12:13], v[44:45], s[18:19], v[12:13] op_sel:[0,0,1] op_sel_hi:[1,0,0]
	v_pk_mul_f32 v[14:15], v[58:59], s[26:27] op_sel_hi:[1,0]
	v_mov_b32_e32 v28, v26
	v_mov_b32_e32 v29, v13
	s_mov_b32 s30, 0x3f52af12
	v_pk_add_f32 v[20:21], v[28:29], v[20:21]
	v_pk_fma_f32 v[28:29], v[56:57], s[10:11], v[14:15] op_sel:[0,0,1] op_sel_hi:[1,0,0] neg_lo:[0,0,1] neg_hi:[0,0,1]
	v_pk_fma_f32 v[14:15], v[56:57], s[10:11], v[14:15] op_sel:[0,0,1] op_sel_hi:[1,0,0]
	v_pk_mul_f32 v[16:17], v[80:81], s[30:31] op_sel_hi:[1,0]
	v_mov_b32_e32 v62, v28
	v_mov_b32_e32 v63, v15
	v_pk_add_f32 v[20:21], v[62:63], v[20:21]
	v_pk_fma_f32 v[62:63], v[72:73], s[2:3], v[16:17] op_sel:[0,0,1] op_sel_hi:[1,0,0] neg_lo:[0,0,1] neg_hi:[0,0,1]
	v_pk_fma_f32 v[16:17], v[72:73], s[2:3], v[16:17] op_sel:[0,0,1] op_sel_hi:[1,0,0]
	v_mov_b32_e32 v66, v62
	v_mov_b32_e32 v67, v17
	v_pk_add_f32 v[20:21], v[66:67], v[20:21]
	v_pk_mul_f32 v[66:67], v[48:49], s[34:35] op_sel_hi:[1,0]
	v_pk_mul_f32 v[68:69], v[50:51], s[20:21] op_sel_hi:[1,0]
	v_pk_fma_f32 v[82:83], v[46:47], s[16:17], v[66:67] op_sel:[0,0,1] op_sel_hi:[1,0,0] neg_lo:[0,0,1] neg_hi:[0,0,1]
	v_pk_fma_f32 v[66:67], v[46:47], s[16:17], v[66:67] op_sel:[0,0,1] op_sel_hi:[1,0,0]
	v_mov_b32_e32 v84, v82
	v_mov_b32_e32 v85, v67
	v_pk_fma_f32 v[86:87], v[42:43], s[18:19], v[68:69] op_sel:[0,0,1] op_sel_hi:[1,0,0] neg_lo:[0,0,1] neg_hi:[0,0,1]
	v_pk_fma_f32 v[68:69], v[42:43], s[18:19], v[68:69] op_sel:[0,0,1] op_sel_hi:[1,0,0]
	v_pk_mul_f32 v[70:71], v[52:53], s[12:13] op_sel_hi:[1,0]
	v_pk_add_f32 v[84:85], v[38:39], v[84:85]
	v_mov_b32_e32 v88, v86
	v_mov_b32_e32 v89, v69
	v_pk_add_f32 v[84:85], v[88:89], v[84:85]
	v_pk_fma_f32 v[88:89], v[40:41], s[2:3], v[70:71] op_sel:[0,0,1] op_sel_hi:[1,0,0] neg_lo:[0,0,1] neg_hi:[0,0,1]
	v_pk_fma_f32 v[70:71], v[40:41], s[2:3], v[70:71] op_sel:[0,0,1] op_sel_hi:[1,0,0]
	v_pk_mul_f32 v[74:75], v[54:55], s[26:27] op_sel_hi:[1,0]
	v_mov_b32_e32 v90, v88
	v_mov_b32_e32 v91, v71
	v_pk_add_f32 v[84:85], v[90:91], v[84:85]
	v_pk_fma_f32 v[90:91], v[44:45], s[10:11], v[74:75] op_sel:[0,0,1] op_sel_hi:[1,0,0] neg_lo:[0,0,1] neg_hi:[0,0,1]
	v_pk_fma_f32 v[74:75], v[44:45], s[10:11], v[74:75] op_sel:[0,0,1] op_sel_hi:[1,0,0]
	v_pk_mul_f32 v[76:77], v[58:59], s[28:29] op_sel_hi:[1,0]
	;; [unrolled: 6-line block ×3, first 2 shown]
	v_mov_b32_e32 v94, v92
	v_mov_b32_e32 v95, v77
	v_pk_add_f32 v[84:85], v[94:95], v[84:85]
	v_pk_fma_f32 v[94:95], v[72:73], s[6:7], v[78:79] op_sel:[0,0,1] op_sel_hi:[1,0,0] neg_lo:[0,0,1] neg_hi:[0,0,1]
	v_pk_fma_f32 v[78:79], v[72:73], s[6:7], v[78:79] op_sel:[0,0,1] op_sel_hi:[1,0,0]
	v_mov_b32_e32 v96, v94
	v_mov_b32_e32 v97, v79
	v_pk_add_f32 v[84:85], v[96:97], v[84:85]
	ds_write2_b64 v100, v[20:21], v[84:85] offset0:4 offset1:5
	v_pk_mul_f32 v[20:21], v[48:49], s[14:15] op_sel_hi:[1,0]
	v_pk_mul_f32 v[48:49], v[50:51], s[28:29] op_sel_hi:[1,0]
	;; [unrolled: 1-line block ×6, first 2 shown]
	v_pk_fma_f32 v[80:81], v[46:47], s[10:11], v[20:21] op_sel:[0,0,1] op_sel_hi:[1,0,0] neg_lo:[0,0,1] neg_hi:[0,0,1]
	v_pk_fma_f32 v[20:21], v[46:47], s[10:11], v[20:21] op_sel:[0,0,1] op_sel_hi:[1,0,0]
	v_mov_b32_e32 v46, v80
	v_mov_b32_e32 v47, v21
	v_pk_fma_f32 v[84:85], v[42:43], s[22:23], v[48:49] op_sel:[0,0,1] op_sel_hi:[1,0,0] neg_lo:[0,0,1] neg_hi:[0,0,1]
	v_pk_fma_f32 v[42:43], v[42:43], s[22:23], v[48:49] op_sel:[0,0,1] op_sel_hi:[1,0,0]
	v_pk_add_f32 v[46:47], v[38:39], v[46:47]
	v_mov_b32_e32 v48, v84
	v_mov_b32_e32 v49, v43
	v_pk_add_f32 v[46:47], v[48:49], v[46:47]
	v_pk_fma_f32 v[48:49], v[40:41], s[16:17], v[50:51] op_sel:[0,0,1] op_sel_hi:[1,0,0] neg_lo:[0,0,1] neg_hi:[0,0,1]
	v_pk_fma_f32 v[40:41], v[40:41], s[16:17], v[50:51] op_sel:[0,0,1] op_sel_hi:[1,0,0]
	v_mov_b32_e32 v50, v48
	v_mov_b32_e32 v51, v41
	v_pk_add_f32 v[46:47], v[50:51], v[46:47]
	v_pk_fma_f32 v[50:51], v[44:45], s[2:3], v[52:53] op_sel:[0,0,1] op_sel_hi:[1,0,0] neg_lo:[0,0,1] neg_hi:[0,0,1]
	v_pk_fma_f32 v[44:45], v[44:45], s[2:3], v[52:53] op_sel:[0,0,1] op_sel_hi:[1,0,0]
	v_mov_b32_e32 v21, v81
	v_mov_b32_e32 v52, v50
	;; [unrolled: 1-line block ×3, first 2 shown]
	v_pk_add_f32 v[20:21], v[38:39], v[20:21]
	v_mov_b32_e32 v43, v85
	v_pk_add_f32 v[46:47], v[52:53], v[46:47]
	v_pk_fma_f32 v[52:53], v[56:57], s[6:7], v[54:55] op_sel:[0,0,1] op_sel_hi:[1,0,0] neg_lo:[0,0,1] neg_hi:[0,0,1]
	v_pk_fma_f32 v[54:55], v[56:57], s[6:7], v[54:55] op_sel:[0,0,1] op_sel_hi:[1,0,0]
	v_pk_add_f32 v[20:21], v[42:43], v[20:21]
	v_mov_b32_e32 v41, v49
	v_mov_b32_e32 v56, v52
	;; [unrolled: 1-line block ×3, first 2 shown]
	v_pk_add_f32 v[20:21], v[40:41], v[20:21]
	v_mov_b32_e32 v45, v51
	v_pk_add_f32 v[46:47], v[56:57], v[46:47]
	v_pk_fma_f32 v[56:57], v[72:73], s[18:19], v[58:59] op_sel:[0,0,1] op_sel_hi:[1,0,0] neg_lo:[0,0,1] neg_hi:[0,0,1]
	v_pk_fma_f32 v[58:59], v[72:73], s[18:19], v[58:59] op_sel:[0,0,1] op_sel_hi:[1,0,0]
	v_pk_add_f32 v[20:21], v[44:45], v[20:21]
	v_mov_b32_e32 v55, v53
	v_mov_b32_e32 v72, v56
	;; [unrolled: 1-line block ×3, first 2 shown]
	v_pk_add_f32 v[20:21], v[54:55], v[20:21]
	v_mov_b32_e32 v59, v57
	v_pk_add_f32 v[46:47], v[72:73], v[46:47]
	v_pk_add_f32 v[20:21], v[58:59], v[20:21]
	v_mov_b32_e32 v67, v83
	v_mov_b32_e32 v7, v19
	ds_write2_b64 v100, v[46:47], v[20:21] offset0:6 offset1:7
	v_pk_add_f32 v[20:21], v[38:39], v[66:67]
	v_mov_b32_e32 v69, v87
	v_pk_add_f32 v[6:7], v[38:39], v[6:7]
	v_mov_b32_e32 v9, v23
	;; [unrolled: 2-line block ×10, first 2 shown]
	v_pk_add_f32 v[20:21], v[78:79], v[20:21]
	v_pk_add_f32 v[6:7], v[16:17], v[6:7]
	ds_write2_b64 v100, v[20:21], v[6:7] offset0:8 offset1:9
	v_mov_b32_e32 v6, v35
	v_mov_b32_e32 v7, v5
	ds_write2_b64 v100, v[6:7], v[2:3] offset0:10 offset1:11
	v_mov_b32_e32 v6, v4
	v_mov_b32_e32 v7, v34
	ds_write_b64 v100, v[6:7] offset:96
.LBB0_19:
	s_or_b64 exec, exec, s[24:25]
	v_add_u32_e32 v40, 0x5b, v32
	s_movk_i32 s2, 0x4f
	v_add_u32_e32 v6, 0x16c, v32
	v_mul_lo_u16_sdwa v7, v32, s2 dst_sel:DWORD dst_unused:UNUSED_PAD src0_sel:BYTE_0 src1_sel:DWORD
	v_mul_lo_u16_sdwa v8, v40, s2 dst_sel:DWORD dst_unused:UNUSED_PAD src0_sel:BYTE_0 src1_sel:DWORD
	s_movk_i32 s2, 0x4ec5
	v_mul_u32_u24_sdwa v10, v36, s2 dst_sel:DWORD dst_unused:UNUSED_PAD src0_sel:WORD_0 src1_sel:DWORD
	v_mul_u32_u24_sdwa v11, v6, s2 dst_sel:DWORD dst_unused:UNUSED_PAD src0_sel:WORD_0 src1_sel:DWORD
	;; [unrolled: 1-line block ×3, first 2 shown]
	v_lshrrev_b32_e32 v50, 18, v10
	v_lshrrev_b32_e32 v51, 18, v11
	v_lshrrev_b16_e32 v43, 10, v7
	v_lshrrev_b16_e32 v48, 10, v8
	v_lshrrev_b32_e32 v49, 18, v9
	v_mul_lo_u16_e32 v10, 13, v50
	v_mul_lo_u16_e32 v11, 13, v51
	;; [unrolled: 1-line block ×5, first 2 shown]
	v_sub_u16_e32 v10, v36, v10
	v_sub_u16_e32 v6, v6, v11
	;; [unrolled: 1-line block ×5, first 2 shown]
	v_lshlrev_b32_e32 v52, 3, v10
	v_mov_b32_e32 v10, 3
	v_lshlrev_b32_e32 v56, 3, v6
	s_waitcnt lgkmcnt(0)
	s_barrier
	global_load_dwordx2 v[18:19], v52, s[4:5]
	v_lshlrev_b32_sdwa v53, v10, v7 dst_sel:DWORD dst_unused:UNUSED_PAD src0_sel:DWORD src1_sel:BYTE_0
	v_lshlrev_b32_sdwa v54, v10, v8 dst_sel:DWORD dst_unused:UNUSED_PAD src0_sel:DWORD src1_sel:BYTE_0
	v_lshlrev_b32_e32 v55, 3, v9
	global_load_dwordx2 v[20:21], v56, s[4:5]
	global_load_dwordx2 v[22:23], v55, s[4:5]
	;; [unrolled: 1-line block ×4, first 2 shown]
	ds_read2_b64 v[10:13], v64 offset0:108 offset1:199
	ds_read2_b64 v[6:9], v139 offset0:34 offset1:125
	v_lshlrev_b32_e32 v0, 3, v0
	s_movk_i32 s2, 0xd0
	s_mov_b32 s3, 0x5040100
	v_add3_u32 v41, 0, v0, v138
	v_mad_u32_u24 v0, v43, s2, 0
	v_mad_u32_u24 v43, v48, s2, 0
	v_perm_b32 v48, v50, v49, s3
	v_lshlrev_b32_e32 v14, 3, v36
	v_add_u32_e32 v36, 0x1400, v33
	v_pk_mul_lo_u16 v48, v48, s2 op_sel_hi:[1,0]
	v_add3_u32 v42, 0, v14, v138
	ds_read2_b64 v[14:17], v36 offset0:88 offset1:179
	ds_read_b64 v[28:29], v42
	ds_read_b64 v[38:39], v41
	ds_read_b64 v[44:45], v33 offset:728
	ds_read_b64 v[46:47], v137
	v_and_b32_e32 v50, 0xfff0, v48
	v_mad_u32_u24 v49, v51, s2, 0
	v_add_u32_sdwa v1, v1, v48 dst_sel:DWORD dst_unused:UNUSED_PAD src0_sel:DWORD src1_sel:WORD_1
	v_add3_u32 v58, v0, v53, v138
	v_add_u32_e32 v0, 0, v50
	v_add3_u32 v43, v43, v54, v138
	v_add3_u32 v59, v1, v52, v138
	;; [unrolled: 1-line block ×4, first 2 shown]
	s_waitcnt lgkmcnt(0)
	s_barrier
	v_cmp_gt_u32_e32 vcc, 39, v32
	v_cmp_lt_u32_e64 s[2:3], 38, v32
	s_waitcnt vmcnt(4)
	v_pk_mul_f32 v[0:1], v[18:19], v[14:15] op_sel:[0,1]
	s_waitcnt vmcnt(3)
	v_pk_mul_f32 v[48:49], v[20:21], v[16:17] op_sel:[0,1]
	s_waitcnt vmcnt(2)
	v_pk_mul_f32 v[50:51], v[22:23], v[8:9] op_sel:[0,1]
	s_waitcnt vmcnt(1)
	v_pk_mul_f32 v[52:53], v[24:25], v[6:7] op_sel:[0,1]
	s_waitcnt vmcnt(0)
	v_pk_mul_f32 v[54:55], v[26:27], v[12:13] op_sel:[0,1]
	v_pk_fma_f32 v[56:57], v[18:19], v[14:15], v[0:1] op_sel:[0,0,1] op_sel_hi:[1,1,0] neg_lo:[0,0,1] neg_hi:[0,0,1]
	v_pk_fma_f32 v[0:1], v[18:19], v[14:15], v[0:1] op_sel:[0,0,1] op_sel_hi:[1,0,0]
	v_pk_fma_f32 v[14:15], v[20:21], v[16:17], v[48:49] op_sel:[0,0,1] op_sel_hi:[1,1,0] neg_lo:[0,0,1] neg_hi:[0,0,1]
	v_pk_fma_f32 v[16:17], v[20:21], v[16:17], v[48:49] op_sel:[0,0,1] op_sel_hi:[1,0,0]
	;; [unrolled: 2-line block ×5, first 2 shown]
	v_mov_b32_e32 v57, v1
	v_mov_b32_e32 v19, v9
	v_mov_b32_e32 v21, v7
	v_mov_b32_e32 v23, v13
	v_mov_b32_e32 v15, v17
	v_pk_add_f32 v[8:9], v[28:29], v[56:57] neg_lo:[0,1] neg_hi:[0,1]
	v_pk_add_f32 v[0:1], v[38:39], v[18:19] neg_lo:[0,1] neg_hi:[0,1]
	v_pk_add_f32 v[6:7], v[44:45], v[20:21] neg_lo:[0,1] neg_hi:[0,1]
	v_pk_add_f32 v[12:13], v[46:47], v[22:23] neg_lo:[0,1] neg_hi:[0,1]
	v_pk_add_f32 v[24:25], v[10:11], v[14:15] neg_lo:[0,1] neg_hi:[0,1]
	v_pk_fma_f32 v[14:15], v[28:29], 2.0, v[8:9] op_sel_hi:[1,0,1] neg_lo:[0,0,1] neg_hi:[0,0,1]
	v_pk_fma_f32 v[16:17], v[38:39], 2.0, v[0:1] op_sel_hi:[1,0,1] neg_lo:[0,0,1] neg_hi:[0,0,1]
	;; [unrolled: 1-line block ×5, first 2 shown]
	ds_write2_b64 v58, v[20:21], v[12:13] offset1:13
	ds_write2_b64 v43, v[18:19], v[6:7] offset1:13
	;; [unrolled: 1-line block ×5, first 2 shown]
	s_waitcnt lgkmcnt(0)
	s_barrier
	ds_read_b64 v[38:39], v137
	ds_read2_b64 v[12:15], v37 offset0:2 offset1:132
	ds_read2_b64 v[20:23], v60 offset0:6 offset1:136
	;; [unrolled: 1-line block ×3, first 2 shown]
                                        ; implicit-def: $vgpr36_vgpr37
                                        ; implicit-def: $vgpr28_vgpr29
                                        ; implicit-def: $vgpr26_vgpr27
	s_and_saveexec_b64 s[6:7], s[2:3]
	s_xor_b64 s[2:3], exec, s[6:7]
; %bb.20:
	v_mov_b32_e32 v26, v25
	v_mov_b32_e32 v27, v2
	v_mov_b64_e32 v[36:37], v[4:5]
	v_mov_b64_e32 v[28:29], v[34:35]
; %bb.21:
	s_andn2_saveexec_b64 s[2:3], s[2:3]
	s_cbranch_execz .LBB0_23
; %bb.22:
	v_add_u32_e32 v0, 0x800, v33
	ds_read2_b32 v[24:25], v0 offset0:190 offset1:191
	v_add_u32_e32 v0, 0xc00, v33
	ds_read2_b64 v[0:3], v0 offset0:97 offset1:227
	v_add_u32_e32 v4, 0x1400, v33
	ds_read2_b64 v[4:7], v4 offset0:101 offset1:231
	ds_read2_b64 v[8:11], v33 offset0:91 offset1:221
	s_waitcnt lgkmcnt(3)
	v_mov_b32_e32 v26, v25
	s_waitcnt lgkmcnt(2)
	v_mov_b32_e32 v27, v2
	;; [unrolled: 2-line block ×3, first 2 shown]
	v_mov_b32_e32 v29, v0
	v_mov_b32_e32 v36, v4
	;; [unrolled: 1-line block ×6, first 2 shown]
.LBB0_23:
	s_or_b64 exec, exec, s[2:3]
	s_movk_i32 s11, 0x4f
	v_mul_lo_u16_sdwa v0, v32, s11 dst_sel:DWORD dst_unused:UNUSED_PAD src0_sel:BYTE_0 src1_sel:DWORD
	v_lshrrev_b16_e32 v43, 11, v0
	v_mul_lo_u16_e32 v0, 26, v43
	v_sub_u16_e32 v65, v32, v0
	v_mov_b32_e32 v1, 6
	v_mul_u32_u24_sdwa v0, v65, v1 dst_sel:DWORD dst_unused:UNUSED_PAD src0_sel:BYTE_0 src1_sel:DWORD
	v_lshlrev_b32_e32 v0, 3, v0
	global_load_dwordx4 v[44:47], v0, s[4:5] offset:104
	global_load_dwordx4 v[48:51], v0, s[4:5] offset:120
	;; [unrolled: 1-line block ×3, first 2 shown]
	s_movk_i32 s3, 0x5b0
	v_mov_b32_e32 v0, 3
	v_mad_u32_u24 v43, v43, s3, 0
	v_lshlrev_b32_sdwa v65, v0, v65 dst_sel:DWORD dst_unused:UNUSED_PAD src0_sel:DWORD src1_sel:BYTE_0
	s_waitcnt lgkmcnt(2)
	v_mov_b32_e32 v56, v15
	v_mov_b32_e32 v58, v14
	s_waitcnt lgkmcnt(1)
	v_mov_b32_e32 v59, v23
	s_waitcnt lgkmcnt(0)
	v_mov_b32_e32 v60, v16
	v_mov_b32_e32 v61, v21
	;; [unrolled: 1-line block ×4, first 2 shown]
	v_add3_u32 v43, v43, v65, v138
	v_mov_b32_e32 v57, v22
	v_mov_b32_e32 v63, v20
	;; [unrolled: 1-line block ×3, first 2 shown]
	s_mov_b32 s6, 0x3eae86e6
	s_mov_b32 s7, 0xbf08b237
	;; [unrolled: 1-line block ×12, first 2 shown]
	s_barrier
	s_waitcnt vmcnt(2)
	v_mul_f32_e32 v67, v47, v15
	s_waitcnt vmcnt(1)
	v_mul_f32_e32 v15, v48, v21
	v_mul_f32_e32 v23, v50, v23
	;; [unrolled: 1-line block ×3, first 2 shown]
	s_waitcnt vmcnt(0)
	v_mul_f32_e32 v17, v53, v17
	v_pk_mul_f32 v[68:69], v[44:45], v[12:13] op_sel_hi:[1,0]
	v_mov_b32_e32 v71, v50
	v_mov_b32_e32 v50, v47
	;; [unrolled: 1-line block ×4, first 2 shown]
	v_mul_f32_e32 v21, v49, v20
	v_mov_b32_e32 v70, v46
	v_mov_b32_e32 v72, v52
	v_pk_mul_f32 v[74:75], v[54:55], v[18:19] op_sel_hi:[1,0]
	v_fma_f32 v20, v52, v16, -v17
	v_pk_fma_f32 v[16:17], v[44:45], v[64:65], v[68:69] op_sel:[0,0,1] op_sel_hi:[1,1,0]
	v_pk_fma_f32 v[12:13], v[44:45], v[12:13], v[68:69] op_sel:[0,1,1] op_sel_hi:[1,1,0] neg_lo:[1,0,0] neg_hi:[1,0,0]
	v_pk_mul_f32 v[44:45], v[50:51], v[58:59]
	v_pk_mul_f32 v[48:49], v[48:49], v[60:61]
	v_fma_f32 v14, v46, v14, -v67
	v_pk_fma_f32 v[50:51], v[54:55], v[66:67], v[74:75] op_sel:[0,0,1] op_sel_hi:[1,1,0]
	v_pk_fma_f32 v[18:19], v[54:55], v[18:19], v[74:75] op_sel:[0,1,1] op_sel_hi:[1,1,0] neg_lo:[1,0,0] neg_hi:[1,0,0]
	v_pk_fma_f32 v[46:47], v[46:47], v[56:57], v[44:45]
	v_pk_fma_f32 v[44:45], v[70:71], v[56:57], v[44:45] neg_lo:[0,0,1] neg_hi:[0,0,1]
	v_pk_fma_f32 v[52:53], v[52:53], v[62:63], v[48:49]
	v_pk_fma_f32 v[48:49], v[72:73], v[62:63], v[48:49] neg_lo:[0,0,1] neg_hi:[0,0,1]
	v_mov_b32_e32 v17, v13
	v_mov_b32_e32 v51, v19
	;; [unrolled: 1-line block ×6, first 2 shown]
	v_pk_add_f32 v[54:55], v[14:15], v[20:21]
	v_mov_b32_e32 v15, v20
	v_pk_add_f32 v[18:19], v[16:17], v[50:51]
	v_pk_add_f32 v[20:21], v[22:23], v[64:65]
	v_mov_b32_e32 v22, v49
	v_pk_add_f32 v[48:49], v[46:47], v[52:53]
	v_mov_b32_e32 v13, v14
	v_mov_b32_e32 v14, v55
	;; [unrolled: 1-line block ×6, first 2 shown]
	v_pk_add_f32 v[16:17], v[16:17], v[50:51] neg_lo:[0,1] neg_hi:[0,1]
	v_pk_add_f32 v[56:57], v[54:55], v[20:21]
	v_pk_add_f32 v[12:13], v[12:13], v[14:15] neg_lo:[0,1] neg_hi:[0,1]
	v_pk_add_f32 v[22:23], v[22:23], v[44:45]
	v_pk_add_f32 v[46:47], v[46:47], v[52:53] neg_lo:[0,1] neg_hi:[0,1]
	v_mov_b32_e32 v53, v17
	v_mov_b32_e32 v59, v18
	;; [unrolled: 1-line block ×7, first 2 shown]
	v_pk_add_f32 v[52:53], v[52:53], v[46:47] neg_lo:[0,1] neg_hi:[0,1]
	v_pk_add_f32 v[58:59], v[58:59], v[54:55] neg_lo:[0,1] neg_hi:[0,1]
	v_mov_b32_e32 v21, v57
	v_mov_b32_e32 v60, v22
	v_mov_b32_e32 v61, v48
	v_pk_add_f32 v[22:23], v[56:57], v[22:23]
	v_pk_add_f32 v[14:15], v[50:51], v[12:13] neg_lo:[0,1] neg_hi:[0,1]
	v_pk_add_f32 v[50:51], v[46:47], v[12:13]
	v_pk_mul_f32 v[52:53], v[52:53], s[8:9]
	v_pk_add_f32 v[60:61], v[20:21], v[60:61] neg_lo:[0,1] neg_hi:[0,1]
	v_pk_add_f32 v[38:39], v[22:23], v[38:39]
	v_pk_mul_f32 v[56:57], v[58:59], s[14:15]
	v_pk_mul_f32 v[44:45], v[14:15], s[6:7]
	v_pk_add_f32 v[50:51], v[50:51], v[16:17]
	v_pk_mul_f32 v[58:59], v[60:61], s[18:19]
	v_pk_fma_f32 v[22:23], v[22:23], s[16:17], v[38:39] op_sel_hi:[1,0,1]
	v_pk_fma_f32 v[60:61], v[60:61], s[18:19], v[56:57]
	v_pk_fma_f32 v[14:15], v[14:15], s[6:7], v[52:53]
	v_mov_b32_e32 v47, v13
	v_mov_b32_e32 v55, v48
	;; [unrolled: 1-line block ×3, first 2 shown]
	v_pk_add_f32 v[60:61], v[60:61], v[22:23]
	v_pk_fma_f32 v[14:15], v[50:51], s[2:3], v[14:15] op_sel_hi:[1,0,1]
	v_pk_add_f32 v[12:13], v[46:47], v[16:17] neg_lo:[0,1] neg_hi:[0,1]
	v_pk_add_f32 v[16:17], v[54:55], v[20:21] neg_lo:[0,1] neg_hi:[0,1]
	v_mov_b32_e32 v18, v58
	v_mov_b32_e32 v19, v57
	;; [unrolled: 1-line block ×6, first 2 shown]
	v_pk_add_f32 v[62:63], v[60:61], v[14:15]
	v_pk_add_f32 v[14:15], v[60:61], v[14:15] neg_lo:[0,1] neg_hi:[0,1]
	v_pk_fma_f32 v[18:19], v[16:17], s[12:13], v[18:19] op_sel_hi:[1,0,1] neg_lo:[1,0,1] neg_hi:[1,0,1]
	v_pk_fma_f32 v[20:21], v[12:13], s[10:11], v[20:21] op_sel_hi:[1,0,1] neg_lo:[1,0,1] neg_hi:[1,0,1]
	;; [unrolled: 1-line block ×4, first 2 shown]
	v_mov_b32_e32 v60, v62
	v_mov_b32_e32 v61, v15
	v_pk_add_f32 v[18:19], v[18:19], v[22:23]
	v_pk_fma_f32 v[20:21], v[50:51], s[2:3], v[20:21] op_sel_hi:[1,0,1]
	v_pk_add_f32 v[16:17], v[16:17], v[22:23]
	v_pk_fma_f32 v[12:13], v[50:51], s[2:3], v[12:13] op_sel_hi:[1,0,1]
	ds_write2_b64 v43, v[38:39], v[60:61] offset1:26
	v_pk_add_f32 v[38:39], v[18:19], v[20:21]
	v_pk_add_f32 v[18:19], v[18:19], v[20:21] neg_lo:[0,1] neg_hi:[0,1]
	v_pk_add_f32 v[22:23], v[16:17], v[12:13] neg_lo:[0,1] neg_hi:[0,1]
	v_pk_add_f32 v[12:13], v[16:17], v[12:13]
	v_mov_b32_e32 v20, v38
	v_mov_b32_e32 v21, v19
	;; [unrolled: 1-line block ×7, first 2 shown]
	ds_write2_b64 v43, v[20:21], v[16:17] offset0:52 offset1:78
	ds_write2_b64 v43, v[12:13], v[18:19] offset0:104 offset1:130
	ds_write_b64 v43, v[14:15] offset:1248
	s_and_saveexec_b64 s[20:21], vcc
	s_cbranch_execz .LBB0_25
; %bb.24:
	v_mul_lo_u16_sdwa v12, v40, s11 dst_sel:DWORD dst_unused:UNUSED_PAD src0_sel:BYTE_0 src1_sel:DWORD
	v_lshrrev_b16_e32 v43, 11, v12
	v_mul_lo_u16_e32 v12, 26, v43
	v_sub_u16_e32 v45, v40, v12
	v_mul_u32_u24_sdwa v1, v45, v1 dst_sel:DWORD dst_unused:UNUSED_PAD src0_sel:BYTE_0 src1_sel:DWORD
	v_lshlrev_b32_e32 v1, 3, v1
	global_load_dwordx4 v[12:15], v1, s[4:5] offset:104
	global_load_dwordx4 v[16:19], v1, s[4:5] offset:136
	;; [unrolled: 1-line block ×3, first 2 shown]
	v_mad_u32_u24 v1, v43, s3, 0
	v_lshlrev_b32_sdwa v0, v0, v45 dst_sel:DWORD dst_unused:UNUSED_PAD src0_sel:DWORD src1_sel:BYTE_0
	v_mov_b32_e32 v38, v24
	v_mov_b32_e32 v39, v3
	;; [unrolled: 1-line block ×5, first 2 shown]
	v_add3_u32 v43, v1, v0, v138
	s_waitcnt vmcnt(2)
	v_pk_mul_f32 v[0:1], v[10:11], v[12:13] op_sel_hi:[0,1]
	s_waitcnt vmcnt(1)
	v_pk_mul_f32 v[6:7], v[6:7], v[18:19] op_sel_hi:[0,1]
	v_mov_b32_e32 v50, v15
	s_waitcnt vmcnt(0)
	v_mov_b32_e32 v51, v23
	v_mov_b32_e32 v54, v17
	;; [unrolled: 1-line block ×3, first 2 shown]
	v_mul_f32_e32 v45, v25, v15
	v_mul_f32_e32 v47, v34, v17
	v_mov_b32_e32 v10, v14
	v_mov_b32_e32 v11, v22
	;; [unrolled: 1-line block ×4, first 2 shown]
	v_mul_f32_e32 v21, v35, v21
	v_mul_f32_e32 v25, v5, v20
	;; [unrolled: 1-line block ×4, first 2 shown]
	v_pk_mul_f32 v[22:23], v[38:39], v[50:51]
	v_pk_mul_f32 v[34:35], v[36:37], v[54:55]
	v_pk_fma_f32 v[36:37], v[46:47], v[18:19], v[6:7] op_sel:[0,0,1] op_sel_hi:[0,1,0]
	v_pk_fma_f32 v[6:7], v[46:47], v[18:19], v[6:7] op_sel:[0,0,1] op_sel_hi:[0,1,0] neg_lo:[1,0,0] neg_hi:[1,0,0]
	v_pk_fma_f32 v[18:19], v[44:45], v[12:13], v[0:1] op_sel:[0,0,1] op_sel_hi:[1,1,0]
	v_pk_fma_f32 v[0:1], v[48:49], v[12:13], v[0:1] op_sel:[0,0,1] op_sel_hi:[0,1,0] neg_lo:[1,0,0] neg_hi:[1,0,0]
	v_fma_f32 v24, v24, v14, -v45
	v_fma_f32 v20, v4, v16, -v47
	v_pk_fma_f32 v[16:17], v[28:29], v[16:17], v[34:35]
	v_pk_fma_f32 v[28:29], v[28:29], v[52:53], v[34:35] neg_lo:[0,0,1] neg_hi:[0,0,1]
	v_pk_fma_f32 v[14:15], v[26:27], v[14:15], v[22:23]
	v_pk_fma_f32 v[10:11], v[26:27], v[10:11], v[22:23] neg_lo:[0,0,1] neg_hi:[0,0,1]
	v_mov_b32_e32 v2, v1
	v_mov_b32_e32 v4, v7
	v_pk_add_f32 v[12:13], v[24:25], v[20:21]
	v_mov_b32_e32 v37, v7
	v_mov_b32_e32 v19, v1
	;; [unrolled: 1-line block ×4, first 2 shown]
	v_pk_add_f32 v[2:3], v[2:3], v[4:5]
	v_mov_b32_e32 v1, v24
	v_mov_b32_e32 v7, v20
	v_pk_add_f32 v[20:21], v[18:19], v[36:37]
	v_mov_b32_e32 v6, v13
	v_pk_add_f32 v[22:23], v[14:15], v[16:17]
	v_mov_b32_e32 v0, v3
	v_pk_add_f32 v[18:19], v[18:19], v[36:37] neg_lo:[0,1] neg_hi:[0,1]
	v_mov_b32_e32 v4, v29
	v_mov_b32_e32 v10, v11
	v_mov_b32_e32 v11, v20
	v_pk_add_f32 v[0:1], v[0:1], v[6:7] neg_lo:[0,1] neg_hi:[0,1]
	v_mov_b32_e32 v5, v22
	v_pk_add_f32 v[14:15], v[14:15], v[16:17] neg_lo:[0,1] neg_hi:[0,1]
	v_mov_b32_e32 v17, v19
	v_pk_add_f32 v[26:27], v[12:13], v[2:3]
	v_mov_b32_e32 v16, v0
	v_pk_add_f32 v[4:5], v[4:5], v[10:11]
	v_mov_b32_e32 v24, v18
	v_mov_b32_e32 v25, v15
	;; [unrolled: 1-line block ×4, first 2 shown]
	v_pk_add_f32 v[10:11], v[16:17], v[14:15] neg_lo:[0,1] neg_hi:[0,1]
	v_pk_add_f32 v[26:27], v[26:27], v[4:5]
	v_mov_b32_e32 v5, v22
	v_pk_add_f32 v[6:7], v[14:15], v[0:1]
	v_pk_add_f32 v[24:25], v[24:25], v[0:1] neg_lo:[0,1] neg_hi:[0,1]
	v_mov_b32_e32 v15, v1
	v_pk_mul_f32 v[0:1], v[10:11], s[8:9]
	v_pk_add_f32 v[10:11], v[2:3], v[4:5] neg_lo:[0,1] neg_hi:[0,1]
	v_mov_b32_e32 v5, v20
	v_pk_add_f32 v[4:5], v[4:5], v[12:13] neg_lo:[0,1] neg_hi:[0,1]
	v_pk_add_f32 v[8:9], v[8:9], v[26:27]
	v_pk_mul_f32 v[4:5], v[4:5], s[14:15]
	v_pk_add_f32 v[6:7], v[6:7], v[18:19]
	v_pk_mul_f32 v[16:17], v[24:25], s[6:7]
	v_pk_add_f32 v[14:15], v[14:15], v[18:19] neg_lo:[0,1] neg_hi:[0,1]
	v_pk_mul_f32 v[18:19], v[10:11], s[18:19]
	v_pk_fma_f32 v[26:27], v[26:27], s[16:17], v[8:9] op_sel_hi:[1,0,1]
	v_pk_fma_f32 v[24:25], v[24:25], s[6:7], v[0:1]
	v_pk_fma_f32 v[10:11], v[10:11], s[18:19], v[4:5]
	v_pk_fma_f32 v[24:25], v[6:7], s[2:3], v[24:25] op_sel_hi:[1,0,1]
	v_pk_add_f32 v[10:11], v[10:11], v[26:27]
	v_mov_b32_e32 v13, v22
	v_pk_add_f32 v[34:35], v[10:11], v[24:25]
	v_pk_add_f32 v[10:11], v[10:11], v[24:25] neg_lo:[0,1] neg_hi:[0,1]
	v_mov_b32_e32 v3, v20
	v_mov_b32_e32 v28, v18
	;; [unrolled: 1-line block ×5, first 2 shown]
	v_pk_add_f32 v[2:3], v[12:13], v[2:3] neg_lo:[0,1] neg_hi:[0,1]
	v_mov_b32_e32 v12, v16
	v_mov_b32_e32 v13, v1
	;; [unrolled: 1-line block ×4, first 2 shown]
	ds_write2_b64 v43, v[8:9], v[24:25] offset1:26
	v_pk_fma_f32 v[8:9], v[2:3], s[12:13], v[28:29] op_sel_hi:[1,0,1] neg_lo:[1,0,1] neg_hi:[1,0,1]
	v_pk_fma_f32 v[12:13], v[14:15], s[10:11], v[12:13] op_sel_hi:[1,0,1] neg_lo:[1,0,1] neg_hi:[1,0,1]
	;; [unrolled: 1-line block ×4, first 2 shown]
	v_pk_add_f32 v[8:9], v[8:9], v[26:27]
	v_pk_fma_f32 v[12:13], v[6:7], s[2:3], v[12:13] op_sel_hi:[1,0,1]
	v_pk_fma_f32 v[0:1], v[6:7], s[2:3], v[0:1] op_sel_hi:[1,0,1]
	v_pk_add_f32 v[2:3], v[2:3], v[26:27]
	v_pk_add_f32 v[20:21], v[8:9], v[12:13]
	v_pk_add_f32 v[8:9], v[8:9], v[12:13] neg_lo:[0,1] neg_hi:[0,1]
	v_pk_add_f32 v[4:5], v[2:3], v[0:1] neg_lo:[0,1] neg_hi:[0,1]
	v_pk_add_f32 v[0:1], v[2:3], v[0:1]
	v_mov_b32_e32 v12, v20
	v_mov_b32_e32 v13, v9
	;; [unrolled: 1-line block ×7, first 2 shown]
	ds_write2_b64 v43, v[12:13], v[2:3] offset0:52 offset1:78
	ds_write2_b64 v43, v[0:1], v[8:9] offset0:104 offset1:130
	ds_write_b64 v43, v[10:11] offset:1248
.LBB0_25:
	s_or_b64 exec, exec, s[20:21]
	v_lshlrev_b32_e32 v0, 2, v32
	v_mov_b32_e32 v1, 0
	v_lshl_add_u64 v[10:11], v[0:1], 3, s[4:5]
	v_lshlrev_b32_e32 v0, 2, v40
	s_waitcnt lgkmcnt(0)
	s_barrier
	global_load_dwordx4 v[2:5], v[10:11], off offset:1352
	global_load_dwordx4 v[6:9], v[10:11], off offset:1368
	v_lshl_add_u64 v[18:19], v[0:1], 3, s[4:5]
	global_load_dwordx4 v[10:13], v[18:19], off offset:1352
	global_load_dwordx4 v[14:17], v[18:19], off offset:1368
	v_add_u32_e32 v52, 0x800, v33
	v_add_u32_e32 v53, 0x1000, v33
	;; [unrolled: 1-line block ×3, first 2 shown]
	ds_read_b64 v[34:35], v42
	ds_read_b64 v[36:37], v137
	ds_read_b64 v[38:39], v41
	ds_read_b64 v[40:41], v33 offset:728
	ds_read2_b64 v[18:21], v52 offset0:108 offset1:199
	ds_read2_b64 v[22:25], v53 offset0:34 offset1:125
	;; [unrolled: 1-line block ×3, first 2 shown]
	s_mov_b32 s4, 0x3f737871
	s_mov_b32 s6, 0x3f167918
	;; [unrolled: 1-line block ×3, first 2 shown]
	s_waitcnt lgkmcnt(0)
	s_barrier
	s_waitcnt vmcnt(3)
	v_pk_mul_f32 v[42:43], v[2:3], v[38:39] op_sel:[0,1]
	v_pk_mul_f32 v[44:45], v[4:5], v[18:19] op_sel:[0,1]
	s_waitcnt vmcnt(2)
	v_pk_mul_f32 v[46:47], v[6:7], v[22:23] op_sel:[0,1]
	v_pk_mul_f32 v[48:49], v[8:9], v[26:27] op_sel:[0,1]
	v_pk_fma_f32 v[50:51], v[2:3], v[38:39], v[42:43] op_sel:[0,0,1] op_sel_hi:[1,1,0] neg_lo:[0,0,1] neg_hi:[0,0,1]
	v_pk_fma_f32 v[2:3], v[2:3], v[38:39], v[42:43] op_sel:[0,0,1] op_sel_hi:[1,0,0]
	v_pk_fma_f32 v[38:39], v[4:5], v[18:19], v[44:45] op_sel:[0,0,1] op_sel_hi:[1,1,0] neg_lo:[0,0,1] neg_hi:[0,0,1]
	v_pk_fma_f32 v[4:5], v[4:5], v[18:19], v[44:45] op_sel:[0,0,1] op_sel_hi:[1,0,0]
	;; [unrolled: 2-line block ×4, first 2 shown]
	s_waitcnt vmcnt(1)
	v_pk_mul_f32 v[26:27], v[10:11], v[34:35] op_sel:[0,1]
	v_mov_b32_e32 v0, v13
	s_waitcnt vmcnt(0)
	v_pk_mul_f32 v[42:43], v[24:25], v[14:15] op_sel:[0,1]
	v_mov_b32_e32 v2, v17
	v_mov_b32_e32 v51, v3
	;; [unrolled: 1-line block ×5, first 2 shown]
	v_pk_fma_f32 v[4:5], v[10:11], v[34:35], v[26:27] op_sel:[0,0,1] op_sel_hi:[1,1,0] neg_lo:[0,0,1] neg_hi:[0,0,1]
	v_pk_fma_f32 v[6:7], v[10:11], v[34:35], v[26:27] op_sel:[0,0,1] op_sel_hi:[1,0,0]
	v_pk_mul_f32 v[8:9], v[20:21], v[0:1] op_sel_hi:[1,0]
	v_pk_fma_f32 v[10:11], v[24:25], v[14:15], v[42:43] op_sel:[0,0,1] op_sel_hi:[1,1,0] neg_lo:[0,0,1] neg_hi:[0,0,1]
	v_pk_fma_f32 v[14:15], v[24:25], v[14:15], v[42:43] op_sel:[0,0,1] op_sel_hi:[1,0,0]
	v_pk_mul_f32 v[2:3], v[28:29], v[2:3] op_sel_hi:[1,0]
	v_pk_add_f32 v[24:25], v[36:37], v[50:51]
	v_mov_b32_e32 v5, v7
	v_pk_fma_f32 v[6:7], v[20:21], v[12:13], v[8:9] op_sel:[0,0,1] op_sel_hi:[1,1,0] neg_lo:[0,0,1] neg_hi:[0,0,1]
	v_pk_fma_f32 v[8:9], v[20:21], v[12:13], v[8:9] op_sel:[0,0,1] op_sel_hi:[1,0,0]
	v_mov_b32_e32 v11, v15
	v_pk_fma_f32 v[12:13], v[28:29], v[16:17], v[2:3] op_sel:[0,0,1] op_sel_hi:[1,1,0] neg_lo:[0,0,1] neg_hi:[0,0,1]
	v_pk_fma_f32 v[2:3], v[28:29], v[16:17], v[2:3] op_sel:[0,0,1] op_sel_hi:[1,0,0]
	v_pk_add_f32 v[14:15], v[38:39], v[18:19]
	v_pk_add_f32 v[16:17], v[50:51], v[22:23] neg_lo:[0,1] neg_hi:[0,1]
	v_pk_add_f32 v[20:21], v[38:39], v[18:19] neg_lo:[0,1] neg_hi:[0,1]
	;; [unrolled: 1-line block ×4, first 2 shown]
	v_pk_add_f32 v[34:35], v[50:51], v[22:23]
	v_pk_add_f32 v[24:25], v[24:25], v[38:39]
	v_mov_b32_e32 v7, v9
	v_pk_fma_f32 v[8:9], v[14:15], 0.5, v[36:37] op_sel_hi:[1,0,1] neg_lo:[1,0,0] neg_hi:[1,0,0]
	v_pk_mul_f32 v[14:15], v[16:17], s[4:5] op_sel_hi:[1,0]
	v_pk_add_f32 v[42:43], v[38:39], v[50:51] neg_lo:[0,1] neg_hi:[0,1]
	v_pk_add_f32 v[44:45], v[18:19], v[22:23] neg_lo:[0,1] neg_hi:[0,1]
	v_pk_mul_f32 v[38:39], v[20:21], s[6:7] op_sel_hi:[1,0]
	v_pk_add_f32 v[26:27], v[26:27], v[28:29]
	v_pk_fma_f32 v[28:29], v[34:35], 0.5, v[36:37] op_sel_hi:[1,0,1] neg_lo:[1,0,0] neg_hi:[1,0,0]
	v_pk_add_f32 v[18:19], v[24:25], v[18:19]
	v_pk_add_f32 v[24:25], v[8:9], v[14:15] op_sel:[0,1] op_sel_hi:[1,0]
	v_pk_mul_f32 v[20:21], v[20:21], s[4:5] op_sel_hi:[1,0]
	v_mov_b32_e32 v13, v3
	v_pk_add_f32 v[2:3], v[40:41], v[4:5]
	v_pk_add_f32 v[8:9], v[8:9], v[14:15] op_sel:[0,1] op_sel_hi:[1,0] neg_lo:[0,1] neg_hi:[0,1]
	v_pk_add_f32 v[14:15], v[18:19], v[22:23]
	v_pk_add_f32 v[18:19], v[24:25], v[38:39] op_sel:[0,1] op_sel_hi:[1,0]
	v_pk_mul_f32 v[16:17], v[16:17], s[6:7] op_sel_hi:[1,0]
	v_pk_add_f32 v[24:25], v[28:29], v[20:21] op_sel:[0,1] op_sel_hi:[1,0] neg_lo:[0,1] neg_hi:[0,1]
	v_pk_add_f32 v[20:21], v[28:29], v[20:21] op_sel:[0,1] op_sel_hi:[1,0]
	v_pk_add_f32 v[2:3], v[2:3], v[6:7]
	v_pk_add_f32 v[8:9], v[8:9], v[38:39] op_sel:[0,1] op_sel_hi:[1,0] neg_lo:[0,1] neg_hi:[0,1]
	v_pk_add_f32 v[20:21], v[20:21], v[16:17] op_sel:[0,1] op_sel_hi:[1,0] neg_lo:[0,1] neg_hi:[0,1]
	v_pk_add_f32 v[16:17], v[24:25], v[16:17] op_sel:[0,1] op_sel_hi:[1,0]
	v_pk_add_f32 v[34:35], v[42:43], v[44:45]
	v_pk_add_f32 v[2:3], v[2:3], v[10:11]
	v_mov_b32_e32 v22, v18
	v_mov_b32_e32 v23, v9
	v_mov_b32_e32 v24, v16
	v_mov_b32_e32 v25, v21
	v_mov_b32_e32 v21, v17
	v_mov_b32_e32 v9, v19
	v_pk_add_f32 v[2:3], v[2:3], v[12:13]
	v_pk_fma_f32 v[22:23], v[26:27], s[2:3], v[22:23] op_sel_hi:[1,0,1]
	v_pk_fma_f32 v[24:25], v[34:35], s[2:3], v[24:25] op_sel_hi:[1,0,1]
	v_add_u32_e32 v0, 0x400, v33
	v_pk_fma_f32 v[16:17], v[34:35], s[2:3], v[20:21] op_sel_hi:[1,0,1]
	v_pk_fma_f32 v[8:9], v[26:27], s[2:3], v[8:9] op_sel_hi:[1,0,1]
	ds_write2_b64 v0, v[22:23], v[24:25] offset0:54 offset1:236
	ds_write2_b64 v53, v[16:17], v[8:9] offset0:34 offset1:216
	ds_write2_b64 v33, v[14:15], v[2:3] offset1:91
	v_pk_add_f32 v[2:3], v[6:7], v[10:11]
	v_pk_add_f32 v[8:9], v[4:5], v[12:13] neg_lo:[0,1] neg_hi:[0,1]
	v_pk_fma_f32 v[2:3], v[2:3], 0.5, v[40:41] op_sel_hi:[1,0,1] neg_lo:[1,0,0] neg_hi:[1,0,0]
	v_pk_mul_f32 v[14:15], v[8:9], s[4:5] op_sel_hi:[1,0]
	v_pk_add_f32 v[16:17], v[6:7], v[10:11] neg_lo:[0,1] neg_hi:[0,1]
	v_pk_add_f32 v[20:21], v[4:5], v[6:7] neg_lo:[0,1] neg_hi:[0,1]
	;; [unrolled: 1-line block ×3, first 2 shown]
	v_pk_mul_f32 v[18:19], v[16:17], s[6:7] op_sel_hi:[1,0]
	v_pk_add_f32 v[20:21], v[20:21], v[22:23]
	v_pk_add_f32 v[22:23], v[2:3], v[14:15] op_sel:[0,1] op_sel_hi:[1,0]
	v_pk_add_f32 v[2:3], v[2:3], v[14:15] op_sel:[0,1] op_sel_hi:[1,0] neg_lo:[0,1] neg_hi:[0,1]
	v_pk_add_f32 v[14:15], v[22:23], v[18:19] op_sel:[0,1] op_sel_hi:[1,0]
	v_pk_add_f32 v[22:23], v[4:5], v[12:13]
	v_pk_add_f32 v[4:5], v[6:7], v[4:5] neg_lo:[0,1] neg_hi:[0,1]
	v_pk_add_f32 v[6:7], v[10:11], v[12:13] neg_lo:[0,1] neg_hi:[0,1]
	v_pk_fma_f32 v[22:23], v[22:23], 0.5, v[40:41] op_sel_hi:[1,0,1] neg_lo:[1,0,0] neg_hi:[1,0,0]
	v_pk_add_f32 v[4:5], v[4:5], v[6:7]
	v_pk_mul_f32 v[6:7], v[16:17], s[4:5] op_sel_hi:[1,0]
	v_pk_mul_f32 v[8:9], v[8:9], s[6:7] op_sel_hi:[1,0]
	v_pk_add_f32 v[10:11], v[22:23], v[6:7] op_sel:[0,1] op_sel_hi:[1,0] neg_lo:[0,1] neg_hi:[0,1]
	v_pk_add_f32 v[6:7], v[22:23], v[6:7] op_sel:[0,1] op_sel_hi:[1,0]
	v_pk_add_f32 v[2:3], v[2:3], v[18:19] op_sel:[0,1] op_sel_hi:[1,0] neg_lo:[0,1] neg_hi:[0,1]
	v_pk_add_f32 v[6:7], v[6:7], v[8:9] op_sel:[0,1] op_sel_hi:[1,0] neg_lo:[0,1] neg_hi:[0,1]
	v_pk_add_f32 v[8:9], v[10:11], v[8:9] op_sel:[0,1] op_sel_hi:[1,0]
	v_mov_b32_e32 v18, v14
	v_mov_b32_e32 v19, v3
	;; [unrolled: 1-line block ×6, first 2 shown]
	v_pk_fma_f32 v[18:19], v[20:21], s[2:3], v[18:19] op_sel_hi:[1,0,1]
	v_pk_fma_f32 v[10:11], v[4:5], s[2:3], v[10:11] op_sel_hi:[1,0,1]
	;; [unrolled: 1-line block ×4, first 2 shown]
	v_add_u32_e32 v0, 0x1200, v33
	ds_write2_b64 v52, v[18:19], v[10:11] offset0:17 offset1:199
	ds_write2_b64 v0, v[4:5], v[2:3] offset0:61 offset1:243
	s_waitcnt lgkmcnt(0)
	s_barrier
	s_and_saveexec_b64 s[2:3], s[0:1]
	s_cbranch_execz .LBB0_27
; %bb.26:
	v_lshl_add_u32 v10, v32, 3, v136
	ds_read2_b64 v[2:5], v10 offset1:91
	v_mov_b32_e32 v33, v1
	v_lshl_add_u64 v[6:7], v[32:33], 3, v[30:31]
	v_add_u32_e32 v8, 0x400, v10
	v_add_u32_e32 v0, 0x5b, v32
	s_waitcnt lgkmcnt(0)
	global_store_dwordx2 v[6:7], v[2:3], off
	ds_read2_b64 v[6:9], v8 offset0:54 offset1:145
	v_lshl_add_u64 v[2:3], v[0:1], 3, v[30:31]
	v_add_u32_e32 v0, 0xb6, v32
	global_store_dwordx2 v[2:3], v[4:5], off
	v_lshl_add_u64 v[2:3], v[0:1], 3, v[30:31]
	s_waitcnt lgkmcnt(0)
	global_store_dwordx2 v[2:3], v[6:7], off
	v_add_u32_e32 v2, 0x800, v10
	ds_read2_b64 v[2:5], v2 offset0:108 offset1:199
	v_add_u32_e32 v0, 0x111, v32
	v_lshl_add_u64 v[6:7], v[0:1], 3, v[30:31]
	v_add_u32_e32 v0, 0x16c, v32
	global_store_dwordx2 v[6:7], v[8:9], off
	v_lshl_add_u64 v[6:7], v[0:1], 3, v[30:31]
	s_waitcnt lgkmcnt(0)
	global_store_dwordx2 v[6:7], v[2:3], off
	v_add_u32_e32 v2, 0x1000, v10
	ds_read2_b64 v[6:9], v2 offset0:34 offset1:125
	v_add_u32_e32 v0, 0x1c7, v32
	;; [unrolled: 9-line block ×3, first 2 shown]
	v_lshl_add_u64 v[6:7], v[0:1], 3, v[30:31]
	v_add_u32_e32 v0, 0x2d8, v32
	global_store_dwordx2 v[6:7], v[8:9], off
	v_lshl_add_u64 v[6:7], v[0:1], 3, v[30:31]
	v_add_u32_e32 v0, 0x333, v32
	v_lshl_add_u64 v[0:1], v[0:1], 3, v[30:31]
	s_waitcnt lgkmcnt(0)
	global_store_dwordx2 v[6:7], v[2:3], off
	global_store_dwordx2 v[0:1], v[4:5], off
.LBB0_27:
	s_endpgm
	.section	.rodata,"a",@progbits
	.p2align	6, 0x0
	.amdhsa_kernel fft_rtc_fwd_len910_factors_13_2_7_5_wgs_182_tpt_91_sp_ip_CI_unitstride_sbrr_C2R_dirReg
		.amdhsa_group_segment_fixed_size 0
		.amdhsa_private_segment_fixed_size 0
		.amdhsa_kernarg_size 88
		.amdhsa_user_sgpr_count 2
		.amdhsa_user_sgpr_dispatch_ptr 0
		.amdhsa_user_sgpr_queue_ptr 0
		.amdhsa_user_sgpr_kernarg_segment_ptr 1
		.amdhsa_user_sgpr_dispatch_id 0
		.amdhsa_user_sgpr_kernarg_preload_length 0
		.amdhsa_user_sgpr_kernarg_preload_offset 0
		.amdhsa_user_sgpr_private_segment_size 0
		.amdhsa_uses_dynamic_stack 0
		.amdhsa_enable_private_segment 0
		.amdhsa_system_sgpr_workgroup_id_x 1
		.amdhsa_system_sgpr_workgroup_id_y 0
		.amdhsa_system_sgpr_workgroup_id_z 0
		.amdhsa_system_sgpr_workgroup_info 0
		.amdhsa_system_vgpr_workitem_id 0
		.amdhsa_next_free_vgpr 144
		.amdhsa_next_free_sgpr 36
		.amdhsa_accum_offset 144
		.amdhsa_reserve_vcc 1
		.amdhsa_float_round_mode_32 0
		.amdhsa_float_round_mode_16_64 0
		.amdhsa_float_denorm_mode_32 3
		.amdhsa_float_denorm_mode_16_64 3
		.amdhsa_dx10_clamp 1
		.amdhsa_ieee_mode 1
		.amdhsa_fp16_overflow 0
		.amdhsa_tg_split 0
		.amdhsa_exception_fp_ieee_invalid_op 0
		.amdhsa_exception_fp_denorm_src 0
		.amdhsa_exception_fp_ieee_div_zero 0
		.amdhsa_exception_fp_ieee_overflow 0
		.amdhsa_exception_fp_ieee_underflow 0
		.amdhsa_exception_fp_ieee_inexact 0
		.amdhsa_exception_int_div_zero 0
	.end_amdhsa_kernel
	.text
.Lfunc_end0:
	.size	fft_rtc_fwd_len910_factors_13_2_7_5_wgs_182_tpt_91_sp_ip_CI_unitstride_sbrr_C2R_dirReg, .Lfunc_end0-fft_rtc_fwd_len910_factors_13_2_7_5_wgs_182_tpt_91_sp_ip_CI_unitstride_sbrr_C2R_dirReg
                                        ; -- End function
	.section	.AMDGPU.csdata,"",@progbits
; Kernel info:
; codeLenInByte = 8992
; NumSgprs: 42
; NumVgprs: 144
; NumAgprs: 0
; TotalNumVgprs: 144
; ScratchSize: 0
; MemoryBound: 0
; FloatMode: 240
; IeeeMode: 1
; LDSByteSize: 0 bytes/workgroup (compile time only)
; SGPRBlocks: 5
; VGPRBlocks: 17
; NumSGPRsForWavesPerEU: 42
; NumVGPRsForWavesPerEU: 144
; AccumOffset: 144
; Occupancy: 3
; WaveLimiterHint : 1
; COMPUTE_PGM_RSRC2:SCRATCH_EN: 0
; COMPUTE_PGM_RSRC2:USER_SGPR: 2
; COMPUTE_PGM_RSRC2:TRAP_HANDLER: 0
; COMPUTE_PGM_RSRC2:TGID_X_EN: 1
; COMPUTE_PGM_RSRC2:TGID_Y_EN: 0
; COMPUTE_PGM_RSRC2:TGID_Z_EN: 0
; COMPUTE_PGM_RSRC2:TIDIG_COMP_CNT: 0
; COMPUTE_PGM_RSRC3_GFX90A:ACCUM_OFFSET: 35
; COMPUTE_PGM_RSRC3_GFX90A:TG_SPLIT: 0
	.text
	.p2alignl 6, 3212836864
	.fill 256, 4, 3212836864
	.type	__hip_cuid_6da53f14a9b3a6a1,@object ; @__hip_cuid_6da53f14a9b3a6a1
	.section	.bss,"aw",@nobits
	.globl	__hip_cuid_6da53f14a9b3a6a1
__hip_cuid_6da53f14a9b3a6a1:
	.byte	0                               ; 0x0
	.size	__hip_cuid_6da53f14a9b3a6a1, 1

	.ident	"AMD clang version 19.0.0git (https://github.com/RadeonOpenCompute/llvm-project roc-6.4.0 25133 c7fe45cf4b819c5991fe208aaa96edf142730f1d)"
	.section	".note.GNU-stack","",@progbits
	.addrsig
	.addrsig_sym __hip_cuid_6da53f14a9b3a6a1
	.amdgpu_metadata
---
amdhsa.kernels:
  - .agpr_count:     0
    .args:
      - .actual_access:  read_only
        .address_space:  global
        .offset:         0
        .size:           8
        .value_kind:     global_buffer
      - .offset:         8
        .size:           8
        .value_kind:     by_value
      - .actual_access:  read_only
        .address_space:  global
        .offset:         16
        .size:           8
        .value_kind:     global_buffer
      - .actual_access:  read_only
        .address_space:  global
        .offset:         24
        .size:           8
        .value_kind:     global_buffer
      - .offset:         32
        .size:           8
        .value_kind:     by_value
      - .actual_access:  read_only
        .address_space:  global
        .offset:         40
        .size:           8
        .value_kind:     global_buffer
      - .actual_access:  read_only
        .address_space:  global
        .offset:         48
        .size:           8
        .value_kind:     global_buffer
      - .offset:         56
        .size:           4
        .value_kind:     by_value
      - .actual_access:  read_only
        .address_space:  global
        .offset:         64
        .size:           8
        .value_kind:     global_buffer
      - .actual_access:  read_only
        .address_space:  global
        .offset:         72
        .size:           8
        .value_kind:     global_buffer
      - .address_space:  global
        .offset:         80
        .size:           8
        .value_kind:     global_buffer
    .group_segment_fixed_size: 0
    .kernarg_segment_align: 8
    .kernarg_segment_size: 88
    .language:       OpenCL C
    .language_version:
      - 2
      - 0
    .max_flat_workgroup_size: 182
    .name:           fft_rtc_fwd_len910_factors_13_2_7_5_wgs_182_tpt_91_sp_ip_CI_unitstride_sbrr_C2R_dirReg
    .private_segment_fixed_size: 0
    .sgpr_count:     42
    .sgpr_spill_count: 0
    .symbol:         fft_rtc_fwd_len910_factors_13_2_7_5_wgs_182_tpt_91_sp_ip_CI_unitstride_sbrr_C2R_dirReg.kd
    .uniform_work_group_size: 1
    .uses_dynamic_stack: false
    .vgpr_count:     144
    .vgpr_spill_count: 0
    .wavefront_size: 64
amdhsa.target:   amdgcn-amd-amdhsa--gfx950
amdhsa.version:
  - 1
  - 2
...

	.end_amdgpu_metadata
